;; amdgpu-corpus repo=ROCm/rocFFT kind=compiled arch=gfx1201 opt=O3
	.text
	.amdgcn_target "amdgcn-amd-amdhsa--gfx1201"
	.amdhsa_code_object_version 6
	.protected	fft_rtc_back_len1734_factors_17_17_6_wgs_102_tpt_102_halfLds_dp_op_CI_CI_unitstride_sbrr_C2R_dirReg ; -- Begin function fft_rtc_back_len1734_factors_17_17_6_wgs_102_tpt_102_halfLds_dp_op_CI_CI_unitstride_sbrr_C2R_dirReg
	.globl	fft_rtc_back_len1734_factors_17_17_6_wgs_102_tpt_102_halfLds_dp_op_CI_CI_unitstride_sbrr_C2R_dirReg
	.p2align	8
	.type	fft_rtc_back_len1734_factors_17_17_6_wgs_102_tpt_102_halfLds_dp_op_CI_CI_unitstride_sbrr_C2R_dirReg,@function
fft_rtc_back_len1734_factors_17_17_6_wgs_102_tpt_102_halfLds_dp_op_CI_CI_unitstride_sbrr_C2R_dirReg: ; @fft_rtc_back_len1734_factors_17_17_6_wgs_102_tpt_102_halfLds_dp_op_CI_CI_unitstride_sbrr_C2R_dirReg
; %bb.0:
	s_clause 0x2
	s_load_b128 s[8:11], s[0:1], 0x0
	s_load_b128 s[4:7], s[0:1], 0x58
	;; [unrolled: 1-line block ×3, first 2 shown]
	v_mul_u32_u24_e32 v1, 0x283, v0
	v_mov_b32_e32 v3, 0
	s_delay_alu instid0(VALU_DEP_2) | instskip(NEXT) | instid1(VALU_DEP_1)
	v_lshrrev_b32_e32 v1, 16, v1
	v_add_nc_u32_e32 v5, ttmp9, v1
	v_mov_b32_e32 v1, 0
	v_mov_b32_e32 v2, 0
	;; [unrolled: 1-line block ×3, first 2 shown]
	s_wait_kmcnt 0x0
	v_cmp_lt_u64_e64 s2, s[10:11], 2
	s_delay_alu instid0(VALU_DEP_1)
	s_and_b32 vcc_lo, exec_lo, s2
	s_cbranch_vccnz .LBB0_8
; %bb.1:
	s_load_b64 s[2:3], s[0:1], 0x10
	v_mov_b32_e32 v1, 0
	v_mov_b32_e32 v2, 0
	s_add_nc_u64 s[16:17], s[14:15], 8
	s_add_nc_u64 s[18:19], s[12:13], 8
	s_mov_b64 s[20:21], 1
	s_delay_alu instid0(VALU_DEP_1)
	v_dual_mov_b32 v73, v2 :: v_dual_mov_b32 v72, v1
	s_wait_kmcnt 0x0
	s_add_nc_u64 s[22:23], s[2:3], 8
	s_mov_b32 s3, 0
.LBB0_2:                                ; =>This Inner Loop Header: Depth=1
	s_load_b64 s[24:25], s[22:23], 0x0
                                        ; implicit-def: $vgpr232_vgpr233
	s_mov_b32 s2, exec_lo
	s_wait_kmcnt 0x0
	v_or_b32_e32 v4, s25, v6
	s_delay_alu instid0(VALU_DEP_1)
	v_cmpx_ne_u64_e32 0, v[3:4]
	s_wait_alu 0xfffe
	s_xor_b32 s26, exec_lo, s2
	s_cbranch_execz .LBB0_4
; %bb.3:                                ;   in Loop: Header=BB0_2 Depth=1
	s_cvt_f32_u32 s2, s24
	s_cvt_f32_u32 s27, s25
	s_sub_nc_u64 s[30:31], 0, s[24:25]
	s_wait_alu 0xfffe
	s_delay_alu instid0(SALU_CYCLE_1) | instskip(SKIP_1) | instid1(SALU_CYCLE_2)
	s_fmamk_f32 s2, s27, 0x4f800000, s2
	s_wait_alu 0xfffe
	v_s_rcp_f32 s2, s2
	s_delay_alu instid0(TRANS32_DEP_1) | instskip(SKIP_1) | instid1(SALU_CYCLE_2)
	s_mul_f32 s2, s2, 0x5f7ffffc
	s_wait_alu 0xfffe
	s_mul_f32 s27, s2, 0x2f800000
	s_wait_alu 0xfffe
	s_delay_alu instid0(SALU_CYCLE_2) | instskip(SKIP_1) | instid1(SALU_CYCLE_2)
	s_trunc_f32 s27, s27
	s_wait_alu 0xfffe
	s_fmamk_f32 s2, s27, 0xcf800000, s2
	s_cvt_u32_f32 s29, s27
	s_wait_alu 0xfffe
	s_delay_alu instid0(SALU_CYCLE_1) | instskip(SKIP_1) | instid1(SALU_CYCLE_2)
	s_cvt_u32_f32 s28, s2
	s_wait_alu 0xfffe
	s_mul_u64 s[34:35], s[30:31], s[28:29]
	s_wait_alu 0xfffe
	s_mul_hi_u32 s37, s28, s35
	s_mul_i32 s36, s28, s35
	s_mul_hi_u32 s2, s28, s34
	s_mul_i32 s33, s29, s34
	s_wait_alu 0xfffe
	s_add_nc_u64 s[36:37], s[2:3], s[36:37]
	s_mul_hi_u32 s27, s29, s34
	s_mul_hi_u32 s38, s29, s35
	s_add_co_u32 s2, s36, s33
	s_wait_alu 0xfffe
	s_add_co_ci_u32 s2, s37, s27
	s_mul_i32 s34, s29, s35
	s_add_co_ci_u32 s35, s38, 0
	s_wait_alu 0xfffe
	s_add_nc_u64 s[34:35], s[2:3], s[34:35]
	s_wait_alu 0xfffe
	v_add_co_u32 v4, s2, s28, s34
	s_delay_alu instid0(VALU_DEP_1) | instskip(SKIP_1) | instid1(VALU_DEP_1)
	s_cmp_lg_u32 s2, 0
	s_add_co_ci_u32 s29, s29, s35
	v_readfirstlane_b32 s28, v4
	s_wait_alu 0xfffe
	s_delay_alu instid0(VALU_DEP_1)
	s_mul_u64 s[30:31], s[30:31], s[28:29]
	s_wait_alu 0xfffe
	s_mul_hi_u32 s35, s28, s31
	s_mul_i32 s34, s28, s31
	s_mul_hi_u32 s2, s28, s30
	s_mul_i32 s33, s29, s30
	s_wait_alu 0xfffe
	s_add_nc_u64 s[34:35], s[2:3], s[34:35]
	s_mul_hi_u32 s27, s29, s30
	s_mul_hi_u32 s28, s29, s31
	s_wait_alu 0xfffe
	s_add_co_u32 s2, s34, s33
	s_add_co_ci_u32 s2, s35, s27
	s_mul_i32 s30, s29, s31
	s_add_co_ci_u32 s31, s28, 0
	s_wait_alu 0xfffe
	s_add_nc_u64 s[30:31], s[2:3], s[30:31]
	s_wait_alu 0xfffe
	v_add_co_u32 v4, s2, v4, s30
	s_delay_alu instid0(VALU_DEP_1) | instskip(SKIP_1) | instid1(VALU_DEP_1)
	s_cmp_lg_u32 s2, 0
	s_add_co_ci_u32 s2, s29, s31
	v_mul_hi_u32 v13, v5, v4
	s_wait_alu 0xfffe
	v_mad_co_u64_u32 v[7:8], null, v5, s2, 0
	v_mad_co_u64_u32 v[9:10], null, v6, v4, 0
	;; [unrolled: 1-line block ×3, first 2 shown]
	s_delay_alu instid0(VALU_DEP_3) | instskip(SKIP_1) | instid1(VALU_DEP_4)
	v_add_co_u32 v4, vcc_lo, v13, v7
	s_wait_alu 0xfffd
	v_add_co_ci_u32_e32 v7, vcc_lo, 0, v8, vcc_lo
	s_delay_alu instid0(VALU_DEP_2) | instskip(SKIP_1) | instid1(VALU_DEP_2)
	v_add_co_u32 v4, vcc_lo, v4, v9
	s_wait_alu 0xfffd
	v_add_co_ci_u32_e32 v4, vcc_lo, v7, v10, vcc_lo
	s_wait_alu 0xfffd
	v_add_co_ci_u32_e32 v7, vcc_lo, 0, v12, vcc_lo
	s_delay_alu instid0(VALU_DEP_2) | instskip(SKIP_1) | instid1(VALU_DEP_2)
	v_add_co_u32 v4, vcc_lo, v4, v11
	s_wait_alu 0xfffd
	v_add_co_ci_u32_e32 v9, vcc_lo, 0, v7, vcc_lo
	s_delay_alu instid0(VALU_DEP_2) | instskip(SKIP_1) | instid1(VALU_DEP_3)
	v_mul_lo_u32 v10, s25, v4
	v_mad_co_u64_u32 v[7:8], null, s24, v4, 0
	v_mul_lo_u32 v11, s24, v9
	s_delay_alu instid0(VALU_DEP_2) | instskip(NEXT) | instid1(VALU_DEP_2)
	v_sub_co_u32 v7, vcc_lo, v5, v7
	v_add3_u32 v8, v8, v11, v10
	s_delay_alu instid0(VALU_DEP_1) | instskip(SKIP_1) | instid1(VALU_DEP_1)
	v_sub_nc_u32_e32 v10, v6, v8
	s_wait_alu 0xfffd
	v_subrev_co_ci_u32_e64 v10, s2, s25, v10, vcc_lo
	v_add_co_u32 v11, s2, v4, 2
	s_wait_alu 0xf1ff
	v_add_co_ci_u32_e64 v12, s2, 0, v9, s2
	v_sub_co_u32 v13, s2, v7, s24
	v_sub_co_ci_u32_e32 v8, vcc_lo, v6, v8, vcc_lo
	s_wait_alu 0xf1ff
	v_subrev_co_ci_u32_e64 v10, s2, 0, v10, s2
	s_delay_alu instid0(VALU_DEP_3) | instskip(NEXT) | instid1(VALU_DEP_3)
	v_cmp_le_u32_e32 vcc_lo, s24, v13
	v_cmp_eq_u32_e64 s2, s25, v8
	s_wait_alu 0xfffd
	v_cndmask_b32_e64 v13, 0, -1, vcc_lo
	v_cmp_le_u32_e32 vcc_lo, s25, v10
	s_wait_alu 0xfffd
	v_cndmask_b32_e64 v14, 0, -1, vcc_lo
	v_cmp_le_u32_e32 vcc_lo, s24, v7
	;; [unrolled: 3-line block ×3, first 2 shown]
	s_wait_alu 0xfffd
	v_cndmask_b32_e64 v15, 0, -1, vcc_lo
	v_cmp_eq_u32_e32 vcc_lo, s25, v10
	s_wait_alu 0xf1ff
	s_delay_alu instid0(VALU_DEP_2)
	v_cndmask_b32_e64 v7, v15, v7, s2
	s_wait_alu 0xfffd
	v_cndmask_b32_e32 v10, v14, v13, vcc_lo
	v_add_co_u32 v13, vcc_lo, v4, 1
	s_wait_alu 0xfffd
	v_add_co_ci_u32_e32 v14, vcc_lo, 0, v9, vcc_lo
	s_delay_alu instid0(VALU_DEP_3) | instskip(SKIP_1) | instid1(VALU_DEP_2)
	v_cmp_ne_u32_e32 vcc_lo, 0, v10
	s_wait_alu 0xfffd
	v_cndmask_b32_e32 v8, v14, v12, vcc_lo
	v_cndmask_b32_e32 v10, v13, v11, vcc_lo
	v_cmp_ne_u32_e32 vcc_lo, 0, v7
	s_wait_alu 0xfffd
	s_delay_alu instid0(VALU_DEP_2)
	v_dual_cndmask_b32 v233, v9, v8 :: v_dual_cndmask_b32 v232, v4, v10
.LBB0_4:                                ;   in Loop: Header=BB0_2 Depth=1
	s_wait_alu 0xfffe
	s_and_not1_saveexec_b32 s2, s26
	s_cbranch_execz .LBB0_6
; %bb.5:                                ;   in Loop: Header=BB0_2 Depth=1
	v_cvt_f32_u32_e32 v4, s24
	s_sub_co_i32 s26, 0, s24
	v_mov_b32_e32 v233, v3
	s_delay_alu instid0(VALU_DEP_2) | instskip(NEXT) | instid1(TRANS32_DEP_1)
	v_rcp_iflag_f32_e32 v4, v4
	v_mul_f32_e32 v4, 0x4f7ffffe, v4
	s_delay_alu instid0(VALU_DEP_1) | instskip(SKIP_1) | instid1(VALU_DEP_1)
	v_cvt_u32_f32_e32 v4, v4
	s_wait_alu 0xfffe
	v_mul_lo_u32 v7, s26, v4
	s_delay_alu instid0(VALU_DEP_1) | instskip(NEXT) | instid1(VALU_DEP_1)
	v_mul_hi_u32 v7, v4, v7
	v_add_nc_u32_e32 v4, v4, v7
	s_delay_alu instid0(VALU_DEP_1) | instskip(NEXT) | instid1(VALU_DEP_1)
	v_mul_hi_u32 v4, v5, v4
	v_mul_lo_u32 v7, v4, s24
	v_add_nc_u32_e32 v8, 1, v4
	s_delay_alu instid0(VALU_DEP_2) | instskip(NEXT) | instid1(VALU_DEP_1)
	v_sub_nc_u32_e32 v7, v5, v7
	v_subrev_nc_u32_e32 v9, s24, v7
	v_cmp_le_u32_e32 vcc_lo, s24, v7
	s_wait_alu 0xfffd
	s_delay_alu instid0(VALU_DEP_2) | instskip(NEXT) | instid1(VALU_DEP_1)
	v_dual_cndmask_b32 v7, v7, v9 :: v_dual_cndmask_b32 v4, v4, v8
	v_cmp_le_u32_e32 vcc_lo, s24, v7
	s_delay_alu instid0(VALU_DEP_2) | instskip(SKIP_1) | instid1(VALU_DEP_1)
	v_add_nc_u32_e32 v8, 1, v4
	s_wait_alu 0xfffd
	v_cndmask_b32_e32 v232, v4, v8, vcc_lo
.LBB0_6:                                ;   in Loop: Header=BB0_2 Depth=1
	s_wait_alu 0xfffe
	s_or_b32 exec_lo, exec_lo, s2
	v_mul_lo_u32 v4, v233, s24
	s_delay_alu instid0(VALU_DEP_2)
	v_mul_lo_u32 v9, v232, s25
	s_load_b64 s[26:27], s[18:19], 0x0
	v_mad_co_u64_u32 v[7:8], null, v232, s24, 0
	s_load_b64 s[24:25], s[16:17], 0x0
	s_add_nc_u64 s[20:21], s[20:21], 1
	s_add_nc_u64 s[16:17], s[16:17], 8
	s_wait_alu 0xfffe
	v_cmp_ge_u64_e64 s2, s[20:21], s[10:11]
	s_add_nc_u64 s[18:19], s[18:19], 8
	s_add_nc_u64 s[22:23], s[22:23], 8
	v_add3_u32 v4, v8, v9, v4
	v_sub_co_u32 v5, vcc_lo, v5, v7
	s_wait_alu 0xfffd
	s_delay_alu instid0(VALU_DEP_2) | instskip(SKIP_2) | instid1(VALU_DEP_1)
	v_sub_co_ci_u32_e32 v4, vcc_lo, v6, v4, vcc_lo
	s_and_b32 vcc_lo, exec_lo, s2
	s_wait_kmcnt 0x0
	v_mul_lo_u32 v6, s26, v4
	v_mul_lo_u32 v7, s27, v5
	v_mad_co_u64_u32 v[1:2], null, s26, v5, v[1:2]
	v_mul_lo_u32 v4, s24, v4
	v_mul_lo_u32 v8, s25, v5
	v_mad_co_u64_u32 v[72:73], null, s24, v5, v[72:73]
	s_delay_alu instid0(VALU_DEP_4) | instskip(NEXT) | instid1(VALU_DEP_2)
	v_add3_u32 v2, v7, v2, v6
	v_add3_u32 v73, v8, v73, v4
	s_wait_alu 0xfffe
	s_cbranch_vccnz .LBB0_9
; %bb.7:                                ;   in Loop: Header=BB0_2 Depth=1
	v_dual_mov_b32 v5, v232 :: v_dual_mov_b32 v6, v233
	s_branch .LBB0_2
.LBB0_8:
	v_dual_mov_b32 v73, v2 :: v_dual_mov_b32 v72, v1
	v_dual_mov_b32 v233, v6 :: v_dual_mov_b32 v232, v5
.LBB0_9:
	s_load_b64 s[0:1], s[0:1], 0x28
	v_mul_hi_u32 v3, 0x2828283, v0
	s_lshl_b64 s[10:11], s[10:11], 3
                                        ; implicit-def: $vgpr230
	s_wait_alu 0xfffe
	s_add_nc_u64 s[2:3], s[14:15], s[10:11]
	s_wait_kmcnt 0x0
	v_cmp_gt_u64_e32 vcc_lo, s[0:1], v[232:233]
	v_cmp_le_u64_e64 s0, s[0:1], v[232:233]
	s_delay_alu instid0(VALU_DEP_1)
	s_and_saveexec_b32 s1, s0
	s_wait_alu 0xfffe
	s_xor_b32 s0, exec_lo, s1
; %bb.10:
	v_mul_u32_u24_e32 v1, 0x66, v3
                                        ; implicit-def: $vgpr3
	s_delay_alu instid0(VALU_DEP_1)
	v_sub_nc_u32_e32 v230, v0, v1
                                        ; implicit-def: $vgpr0
                                        ; implicit-def: $vgpr1_vgpr2
; %bb.11:
	s_wait_alu 0xfffe
	s_or_saveexec_b32 s1, s0
	s_load_b64 s[2:3], s[2:3], 0x0
	s_xor_b32 exec_lo, exec_lo, s1
	s_cbranch_execz .LBB0_15
; %bb.12:
	s_add_nc_u64 s[10:11], s[12:13], s[10:11]
	v_lshlrev_b64_e32 v[1:2], 4, v[1:2]
	s_load_b64 s[10:11], s[10:11], 0x0
	s_wait_kmcnt 0x0
	v_mul_lo_u32 v6, s11, v232
	v_mul_lo_u32 v7, s10, v233
	v_mad_co_u64_u32 v[4:5], null, s10, v232, 0
	s_delay_alu instid0(VALU_DEP_1) | instskip(SKIP_1) | instid1(VALU_DEP_2)
	v_add3_u32 v5, v5, v7, v6
	v_mul_u32_u24_e32 v6, 0x66, v3
	v_lshlrev_b64_e32 v[3:4], 4, v[4:5]
	s_delay_alu instid0(VALU_DEP_2) | instskip(NEXT) | instid1(VALU_DEP_1)
	v_sub_nc_u32_e32 v230, v0, v6
	v_lshlrev_b32_e32 v70, 4, v230
	s_delay_alu instid0(VALU_DEP_3) | instskip(SKIP_1) | instid1(VALU_DEP_4)
	v_add_co_u32 v0, s0, s4, v3
	s_wait_alu 0xf1ff
	v_add_co_ci_u32_e64 v3, s0, s5, v4, s0
	s_mov_b32 s4, exec_lo
	s_delay_alu instid0(VALU_DEP_2) | instskip(SKIP_1) | instid1(VALU_DEP_2)
	v_add_co_u32 v0, s0, v0, v1
	s_wait_alu 0xf1ff
	v_add_co_ci_u32_e64 v1, s0, v3, v2, s0
	s_delay_alu instid0(VALU_DEP_2) | instskip(SKIP_1) | instid1(VALU_DEP_2)
	v_add_co_u32 v66, s0, v0, v70
	s_wait_alu 0xf1ff
	v_add_co_ci_u32_e64 v67, s0, 0, v1, s0
	s_clause 0x10
	global_load_b128 v[2:5], v[66:67], off
	global_load_b128 v[6:9], v[66:67], off offset:1632
	global_load_b128 v[10:13], v[66:67], off offset:3264
	global_load_b128 v[14:17], v[66:67], off offset:4896
	global_load_b128 v[18:21], v[66:67], off offset:6528
	global_load_b128 v[22:25], v[66:67], off offset:8160
	global_load_b128 v[26:29], v[66:67], off offset:9792
	global_load_b128 v[30:33], v[66:67], off offset:11424
	global_load_b128 v[34:37], v[66:67], off offset:13056
	global_load_b128 v[38:41], v[66:67], off offset:14688
	global_load_b128 v[42:45], v[66:67], off offset:16320
	global_load_b128 v[46:49], v[66:67], off offset:17952
	global_load_b128 v[50:53], v[66:67], off offset:19584
	global_load_b128 v[54:57], v[66:67], off offset:21216
	global_load_b128 v[58:61], v[66:67], off offset:22848
	global_load_b128 v[62:65], v[66:67], off offset:24480
	global_load_b128 v[66:69], v[66:67], off offset:26112
	v_add_nc_u32_e32 v70, 0, v70
	s_wait_loadcnt 0x10
	ds_store_b128 v70, v[2:5]
	s_wait_loadcnt 0xf
	ds_store_b128 v70, v[6:9] offset:1632
	s_wait_loadcnt 0xe
	ds_store_b128 v70, v[10:13] offset:3264
	;; [unrolled: 2-line block ×16, first 2 shown]
	v_cmpx_eq_u32_e32 0x65, v230
	s_cbranch_execz .LBB0_14
; %bb.13:
	global_load_b128 v[0:3], v[0:1], off offset:27744
	v_mov_b32_e32 v4, 0
	v_mov_b32_e32 v230, 0x65
	s_wait_loadcnt 0x0
	ds_store_b128 v4, v[0:3] offset:27744
.LBB0_14:
	s_wait_alu 0xfffe
	s_or_b32 exec_lo, exec_lo, s4
.LBB0_15:
	s_delay_alu instid0(SALU_CYCLE_1)
	s_or_b32 exec_lo, exec_lo, s1
	v_lshlrev_b32_e32 v0, 4, v230
	global_wb scope:SCOPE_SE
	s_wait_dscnt 0x0
	s_wait_kmcnt 0x0
	s_barrier_signal -1
	s_barrier_wait -1
	global_inv scope:SCOPE_SE
	v_add_nc_u32_e32 v120, 0, v0
	v_sub_nc_u32_e32 v10, 0, v0
	s_mov_b32 s1, exec_lo
                                        ; implicit-def: $vgpr4_vgpr5
	ds_load_b64 v[6:7], v120
	ds_load_b64 v[8:9], v10 offset:27744
	s_wait_dscnt 0x0
	v_add_f64_e32 v[0:1], v[6:7], v[8:9]
	v_add_f64_e64 v[2:3], v[6:7], -v[8:9]
	v_cmpx_ne_u32_e32 0, v230
	s_wait_alu 0xfffe
	s_xor_b32 s1, exec_lo, s1
	s_cbranch_execz .LBB0_17
; %bb.16:
	v_mov_b32_e32 v231, 0
	v_add_f64_e32 v[13:14], v[6:7], v[8:9]
	v_add_f64_e64 v[15:16], v[6:7], -v[8:9]
	s_delay_alu instid0(VALU_DEP_3) | instskip(NEXT) | instid1(VALU_DEP_1)
	v_lshlrev_b64_e32 v[0:1], 4, v[230:231]
	v_add_co_u32 v0, s0, s8, v0
	s_wait_alu 0xf1ff
	s_delay_alu instid0(VALU_DEP_2)
	v_add_co_ci_u32_e64 v1, s0, s9, v1, s0
	global_load_b128 v[2:5], v[0:1], off offset:27472
	ds_load_b64 v[0:1], v10 offset:27752
	ds_load_b64 v[11:12], v120 offset:8
	s_wait_dscnt 0x0
	v_add_f64_e32 v[6:7], v[0:1], v[11:12]
	v_add_f64_e64 v[0:1], v[11:12], -v[0:1]
	s_wait_loadcnt 0x0
	v_fma_f64 v[8:9], v[15:16], v[4:5], v[13:14]
	v_fma_f64 v[11:12], -v[15:16], v[4:5], v[13:14]
	s_delay_alu instid0(VALU_DEP_3) | instskip(SKIP_1) | instid1(VALU_DEP_4)
	v_fma_f64 v[13:14], v[6:7], v[4:5], -v[0:1]
	v_fma_f64 v[4:5], v[6:7], v[4:5], v[0:1]
	v_fma_f64 v[0:1], -v[6:7], v[2:3], v[8:9]
	s_delay_alu instid0(VALU_DEP_4) | instskip(NEXT) | instid1(VALU_DEP_4)
	v_fma_f64 v[6:7], v[6:7], v[2:3], v[11:12]
	v_fma_f64 v[8:9], v[15:16], v[2:3], v[13:14]
	s_delay_alu instid0(VALU_DEP_4)
	v_fma_f64 v[2:3], v[15:16], v[2:3], v[4:5]
	v_dual_mov_b32 v4, v230 :: v_dual_mov_b32 v5, v231
	ds_store_b128 v10, v[6:9] offset:27744
.LBB0_17:
	s_wait_alu 0xfffe
	s_and_not1_saveexec_b32 s0, s1
	s_cbranch_execz .LBB0_19
; %bb.18:
	v_mov_b32_e32 v8, 0
	ds_load_b128 v[4:7], v8 offset:13872
	s_wait_dscnt 0x0
	v_add_f64_e32 v[11:12], v[4:5], v[4:5]
	v_mul_f64_e32 v[13:14], -2.0, v[6:7]
	v_mov_b32_e32 v4, 0
	v_mov_b32_e32 v5, 0
	ds_store_b128 v8, v[11:14] offset:13872
.LBB0_19:
	s_wait_alu 0xfffe
	s_or_b32 exec_lo, exec_lo, s0
	v_lshlrev_b64_e32 v[4:5], 4, v[4:5]
	s_add_nc_u64 s[0:1], s[8:9], 0x6b50
	s_wait_alu 0xfffe
	s_delay_alu instid0(VALU_DEP_1) | instskip(SKIP_1) | instid1(VALU_DEP_2)
	v_add_co_u32 v4, s0, s0, v4
	s_wait_alu 0xf1ff
	v_add_co_ci_u32_e64 v5, s0, s1, v5, s0
	s_mov_b32 s1, exec_lo
	s_clause 0x1
	global_load_b128 v[6:9], v[4:5], off offset:1632
	global_load_b128 v[11:14], v[4:5], off offset:3264
	ds_store_b128 v120, v[0:3]
	ds_load_b128 v[0:3], v120 offset:1632
	ds_load_b128 v[15:18], v10 offset:26112
	global_load_b128 v[19:22], v[4:5], off offset:4896
	s_wait_dscnt 0x0
	v_add_f64_e32 v[23:24], v[0:1], v[15:16]
	v_add_f64_e32 v[25:26], v[17:18], v[2:3]
	v_add_f64_e64 v[27:28], v[0:1], -v[15:16]
	v_add_f64_e64 v[0:1], v[2:3], -v[17:18]
	s_wait_loadcnt 0x2
	s_delay_alu instid0(VALU_DEP_2) | instskip(NEXT) | instid1(VALU_DEP_2)
	v_fma_f64 v[2:3], v[27:28], v[8:9], v[23:24]
	v_fma_f64 v[15:16], v[25:26], v[8:9], v[0:1]
	v_fma_f64 v[17:18], -v[27:28], v[8:9], v[23:24]
	v_fma_f64 v[8:9], v[25:26], v[8:9], -v[0:1]
	s_delay_alu instid0(VALU_DEP_4) | instskip(NEXT) | instid1(VALU_DEP_4)
	v_fma_f64 v[0:1], -v[25:26], v[6:7], v[2:3]
	v_fma_f64 v[2:3], v[27:28], v[6:7], v[15:16]
	s_delay_alu instid0(VALU_DEP_4) | instskip(NEXT) | instid1(VALU_DEP_4)
	v_fma_f64 v[15:16], v[25:26], v[6:7], v[17:18]
	v_fma_f64 v[17:18], v[27:28], v[6:7], v[8:9]
	ds_store_b128 v120, v[0:3] offset:1632
	ds_store_b128 v10, v[15:18] offset:26112
	ds_load_b128 v[0:3], v120 offset:3264
	ds_load_b128 v[6:9], v10 offset:24480
	global_load_b128 v[15:18], v[4:5], off offset:6528
	s_wait_dscnt 0x0
	v_add_f64_e32 v[23:24], v[0:1], v[6:7]
	v_add_f64_e32 v[25:26], v[8:9], v[2:3]
	v_add_f64_e64 v[27:28], v[0:1], -v[6:7]
	v_add_f64_e64 v[0:1], v[2:3], -v[8:9]
	s_wait_loadcnt 0x2
	s_delay_alu instid0(VALU_DEP_2) | instskip(NEXT) | instid1(VALU_DEP_2)
	v_fma_f64 v[2:3], v[27:28], v[13:14], v[23:24]
	v_fma_f64 v[6:7], v[25:26], v[13:14], v[0:1]
	v_fma_f64 v[8:9], -v[27:28], v[13:14], v[23:24]
	v_fma_f64 v[13:14], v[25:26], v[13:14], -v[0:1]
	s_delay_alu instid0(VALU_DEP_4) | instskip(NEXT) | instid1(VALU_DEP_4)
	v_fma_f64 v[0:1], -v[25:26], v[11:12], v[2:3]
	v_fma_f64 v[2:3], v[27:28], v[11:12], v[6:7]
	s_delay_alu instid0(VALU_DEP_4) | instskip(NEXT) | instid1(VALU_DEP_4)
	v_fma_f64 v[6:7], v[25:26], v[11:12], v[8:9]
	v_fma_f64 v[8:9], v[27:28], v[11:12], v[13:14]
	ds_store_b128 v120, v[0:3] offset:3264
	ds_store_b128 v10, v[6:9] offset:24480
	;; [unrolled: 22-line block ×5, first 2 shown]
	ds_load_b128 v[0:3], v120 offset:9792
	ds_load_b128 v[6:9], v10 offset:17952
	s_wait_dscnt 0x0
	v_add_f64_e32 v[11:12], v[0:1], v[6:7]
	v_add_f64_e32 v[13:14], v[8:9], v[2:3]
	v_add_f64_e64 v[23:24], v[0:1], -v[6:7]
	v_add_f64_e64 v[0:1], v[2:3], -v[8:9]
	s_wait_loadcnt 0x1
	s_delay_alu instid0(VALU_DEP_2) | instskip(NEXT) | instid1(VALU_DEP_2)
	v_fma_f64 v[2:3], v[23:24], v[21:22], v[11:12]
	v_fma_f64 v[6:7], v[13:14], v[21:22], v[0:1]
	v_fma_f64 v[8:9], -v[23:24], v[21:22], v[11:12]
	v_fma_f64 v[11:12], v[13:14], v[21:22], -v[0:1]
	s_delay_alu instid0(VALU_DEP_4) | instskip(NEXT) | instid1(VALU_DEP_4)
	v_fma_f64 v[0:1], -v[13:14], v[19:20], v[2:3]
	v_fma_f64 v[2:3], v[23:24], v[19:20], v[6:7]
	s_delay_alu instid0(VALU_DEP_4) | instskip(NEXT) | instid1(VALU_DEP_4)
	v_fma_f64 v[6:7], v[13:14], v[19:20], v[8:9]
	v_fma_f64 v[8:9], v[23:24], v[19:20], v[11:12]
	ds_store_b128 v120, v[0:3] offset:9792
	ds_store_b128 v10, v[6:9] offset:17952
	ds_load_b128 v[0:3], v120 offset:11424
	ds_load_b128 v[6:9], v10 offset:16320
	s_wait_dscnt 0x0
	v_add_f64_e32 v[11:12], v[0:1], v[6:7]
	v_add_f64_e32 v[13:14], v[8:9], v[2:3]
	v_add_f64_e64 v[19:20], v[0:1], -v[6:7]
	v_add_f64_e64 v[0:1], v[2:3], -v[8:9]
	s_wait_loadcnt 0x0
	s_delay_alu instid0(VALU_DEP_2) | instskip(NEXT) | instid1(VALU_DEP_2)
	v_fma_f64 v[2:3], v[19:20], v[17:18], v[11:12]
	v_fma_f64 v[6:7], v[13:14], v[17:18], v[0:1]
	v_fma_f64 v[8:9], -v[19:20], v[17:18], v[11:12]
	v_fma_f64 v[11:12], v[13:14], v[17:18], -v[0:1]
	s_delay_alu instid0(VALU_DEP_4) | instskip(NEXT) | instid1(VALU_DEP_4)
	v_fma_f64 v[0:1], -v[13:14], v[15:16], v[2:3]
	v_fma_f64 v[2:3], v[19:20], v[15:16], v[6:7]
	s_delay_alu instid0(VALU_DEP_4) | instskip(NEXT) | instid1(VALU_DEP_4)
	v_fma_f64 v[6:7], v[13:14], v[15:16], v[8:9]
	v_fma_f64 v[8:9], v[19:20], v[15:16], v[11:12]
	ds_store_b128 v120, v[0:3] offset:11424
	ds_store_b128 v10, v[6:9] offset:16320
	v_cmpx_gt_u32_e32 51, v230
	s_cbranch_execz .LBB0_21
; %bb.20:
	global_load_b128 v[0:3], v[4:5], off offset:13056
	ds_load_b128 v[4:7], v120 offset:13056
	ds_load_b128 v[11:14], v10 offset:14688
	s_wait_dscnt 0x0
	v_add_f64_e32 v[8:9], v[4:5], v[11:12]
	v_add_f64_e32 v[15:16], v[13:14], v[6:7]
	v_add_f64_e64 v[11:12], v[4:5], -v[11:12]
	v_add_f64_e64 v[4:5], v[6:7], -v[13:14]
	s_wait_loadcnt 0x0
	s_delay_alu instid0(VALU_DEP_2) | instskip(NEXT) | instid1(VALU_DEP_2)
	v_fma_f64 v[6:7], v[11:12], v[2:3], v[8:9]
	v_fma_f64 v[13:14], v[15:16], v[2:3], v[4:5]
	v_fma_f64 v[8:9], -v[11:12], v[2:3], v[8:9]
	v_fma_f64 v[17:18], v[15:16], v[2:3], -v[4:5]
	s_delay_alu instid0(VALU_DEP_4) | instskip(NEXT) | instid1(VALU_DEP_4)
	v_fma_f64 v[2:3], -v[15:16], v[0:1], v[6:7]
	v_fma_f64 v[4:5], v[11:12], v[0:1], v[13:14]
	s_delay_alu instid0(VALU_DEP_4) | instskip(NEXT) | instid1(VALU_DEP_4)
	v_fma_f64 v[6:7], v[15:16], v[0:1], v[8:9]
	v_fma_f64 v[8:9], v[11:12], v[0:1], v[17:18]
	ds_store_b128 v120, v[2:5] offset:13056
	ds_store_b128 v10, v[6:9] offset:14688
.LBB0_21:
	s_wait_alu 0xfffe
	s_or_b32 exec_lo, exec_lo, s1
	global_wb scope:SCOPE_SE
	s_wait_dscnt 0x0
	s_barrier_signal -1
	s_barrier_wait -1
	global_inv scope:SCOPE_SE
	global_wb scope:SCOPE_SE
	s_barrier_signal -1
	s_barrier_wait -1
	global_inv scope:SCOPE_SE
	ds_load_b128 v[4:7], v120
	ds_load_b128 v[0:3], v120 offset:1632
	ds_load_b128 v[8:11], v120 offset:3264
	;; [unrolled: 1-line block ×3, first 2 shown]
	s_mov_b32 s38, 0x5d8e7cdc
	s_mov_b32 s18, 0x2a9d6da3
	;; [unrolled: 1-line block ×18, first 2 shown]
	s_wait_dscnt 0x2
	v_add_f64_e32 v[16:17], v[4:5], v[0:1]
	v_add_f64_e32 v[18:19], v[6:7], v[2:3]
	s_mov_b32 s30, 0x2b2883cd
	s_mov_b32 s28, 0x3259b75e
	;; [unrolled: 1-line block ×27, first 2 shown]
	s_wait_alu 0xfffe
	s_mov_b32 s52, s10
	s_mov_b32 s46, s4
	;; [unrolled: 1-line block ×3, first 2 shown]
	s_wait_dscnt 0x1
	s_delay_alu instid0(VALU_DEP_2) | instskip(NEXT) | instid1(VALU_DEP_2)
	v_add_f64_e32 v[16:17], v[16:17], v[8:9]
	v_add_f64_e32 v[18:19], v[18:19], v[10:11]
	s_wait_dscnt 0x0
	s_delay_alu instid0(VALU_DEP_2) | instskip(NEXT) | instid1(VALU_DEP_2)
	v_add_f64_e32 v[24:25], v[16:17], v[12:13]
	v_add_f64_e32 v[26:27], v[18:19], v[14:15]
	ds_load_b128 v[16:19], v120 offset:6528
	ds_load_b128 v[20:23], v120 offset:8160
	s_wait_dscnt 0x1
	v_add_f64_e32 v[24:25], v[24:25], v[16:17]
	v_add_f64_e32 v[26:27], v[26:27], v[18:19]
	s_wait_dscnt 0x0
	s_delay_alu instid0(VALU_DEP_2) | instskip(NEXT) | instid1(VALU_DEP_2)
	v_add_f64_e32 v[32:33], v[24:25], v[20:21]
	v_add_f64_e32 v[34:35], v[26:27], v[22:23]
	ds_load_b128 v[24:27], v120 offset:9792
	ds_load_b128 v[28:31], v120 offset:11424
	s_wait_dscnt 0x1
	;; [unrolled: 9-line block ×3, first 2 shown]
	v_add_f64_e32 v[48:49], v[32:33], v[36:37]
	v_add_f64_e32 v[44:45], v[34:35], v[38:39]
	v_add_f64_e64 v[50:51], v[32:33], -v[36:37]
	v_add_f64_e64 v[46:47], v[34:35], -v[38:39]
	v_add_f64_e32 v[40:41], v[40:41], v[32:33]
	v_add_f64_e32 v[42:43], v[42:43], v[34:35]
	v_mul_f64_e32 v[152:153], s[36:37], v[44:45]
	v_mul_f64_e32 v[198:199], s[22:23], v[44:45]
	;; [unrolled: 1-line block ×4, first 2 shown]
	v_add_f64_e32 v[56:57], v[40:41], v[36:37]
	v_add_f64_e32 v[58:59], v[42:43], v[38:39]
	ds_load_b128 v[32:35], v120 offset:16320
	ds_load_b128 v[36:39], v120 offset:17952
	s_wait_dscnt 0x1
	v_add_f64_e32 v[52:53], v[28:29], v[32:33]
	v_add_f64_e32 v[40:41], v[30:31], v[34:35]
	v_add_f64_e64 v[54:55], v[28:29], -v[32:33]
	v_add_f64_e64 v[42:43], v[30:31], -v[34:35]
	s_wait_dscnt 0x0
	v_add_f64_e32 v[154:155], v[26:27], v[38:39]
	v_add_f64_e64 v[156:157], v[26:27], -v[38:39]
	v_add_f64_e32 v[28:29], v[56:57], v[32:33]
	v_add_f64_e32 v[30:31], v[58:59], v[34:35]
	;; [unrolled: 1-line block ×3, first 2 shown]
	v_add_f64_e64 v[58:59], v[24:25], -v[36:37]
	v_mul_f64_e32 v[148:149], s[30:31], v[40:41]
	v_mul_f64_e32 v[190:191], s[28:29], v[40:41]
	;; [unrolled: 1-line block ×16, first 2 shown]
	v_add_f64_e32 v[32:33], v[28:29], v[36:37]
	v_add_f64_e32 v[34:35], v[30:31], v[38:39]
	ds_load_b128 v[24:27], v120 offset:19584
	ds_load_b128 v[28:31], v120 offset:21216
	v_mul_f64_e32 v[206:207], s[20:21], v[40:41]
	s_wait_dscnt 0x1
	v_add_f64_e32 v[60:61], v[20:21], v[24:25]
	v_add_f64_e32 v[158:159], v[22:23], v[26:27]
	v_add_f64_e64 v[62:63], v[20:21], -v[24:25]
	v_add_f64_e64 v[160:161], v[22:23], -v[26:27]
	s_wait_dscnt 0x0
	v_add_f64_e32 v[64:65], v[16:17], v[28:29]
	v_add_f64_e32 v[162:163], v[18:19], v[30:31]
	v_add_f64_e64 v[66:67], v[16:17], -v[28:29]
	v_add_f64_e64 v[164:165], v[18:19], -v[30:31]
	v_add_f64_e32 v[20:21], v[32:33], v[24:25]
	v_add_f64_e32 v[22:23], v[34:35], v[26:27]
	v_mul_f64_e32 v[180:181], s[34:35], v[158:159]
	v_mul_f64_e32 v[246:247], s[30:31], v[158:159]
	;; [unrolled: 1-line block ×14, first 2 shown]
	v_add_f64_e32 v[24:25], v[20:21], v[28:29]
	v_add_f64_e32 v[26:27], v[22:23], v[30:31]
	ds_load_b128 v[16:19], v120 offset:22848
	ds_load_b128 v[20:23], v120 offset:24480
	s_wait_dscnt 0x1
	v_add_f64_e32 v[68:69], v[12:13], v[16:17]
	v_add_f64_e32 v[186:187], v[14:15], v[18:19]
	v_add_f64_e64 v[70:71], v[12:13], -v[16:17]
	v_add_f64_e64 v[192:193], v[14:15], -v[18:19]
	s_wait_dscnt 0x0
	v_add_f64_e32 v[78:79], v[8:9], v[20:21]
	v_add_f64_e32 v[194:195], v[10:11], v[22:23]
	v_add_f64_e64 v[80:81], v[8:9], -v[20:21]
	v_add_f64_e64 v[200:201], v[10:11], -v[22:23]
	ds_load_b128 v[8:11], v120 offset:26112
	v_add_f64_e32 v[12:13], v[24:25], v[16:17]
	v_add_f64_e32 v[14:15], v[26:27], v[18:19]
	s_wait_dscnt 0x0
	v_add_f64_e64 v[16:17], v[2:3], -v[10:11]
	v_add_f64_e32 v[18:19], v[0:1], v[8:9]
	v_mul_f64_e32 v[172:173], s[20:21], v[186:187]
	v_mul_f64_e32 v[238:239], s[26:27], v[186:187]
	;; [unrolled: 1-line block ×7, first 2 shown]
	v_add_f64_e32 v[12:13], v[12:13], v[20:21]
	v_add_f64_e32 v[14:15], v[14:15], v[22:23]
	;; [unrolled: 1-line block ×3, first 2 shown]
	v_add_f64_e64 v[22:23], v[0:1], -v[8:9]
	v_mul_f64_e32 v[24:25], s[12:13], v[16:17]
	v_mul_f64_e32 v[26:27], s[10:11], v[16:17]
	;; [unrolled: 1-line block ×3, first 2 shown]
	v_add_f64_e32 v[0:1], v[12:13], v[8:9]
	v_add_f64_e32 v[2:3], v[14:15], v[10:11]
	v_mul_f64_e32 v[8:9], s[38:39], v[16:17]
	v_mul_f64_e32 v[10:11], s[18:19], v[16:17]
	;; [unrolled: 1-line block ×9, first 2 shown]
	v_fma_f64 v[38:39], v[18:19], s[26:27], v[24:25]
	v_fma_f64 v[24:25], v[18:19], s[26:27], -v[24:25]
	v_fma_f64 v[88:89], v[18:19], s[24:25], v[26:27]
	v_fma_f64 v[26:27], v[18:19], s[24:25], -v[26:27]
	;; [unrolled: 2-line block ×3, first 2 shown]
	v_mul_f64_e32 v[96:97], s[24:25], v[20:21]
	v_mul_f64_e32 v[98:99], s[22:23], v[20:21]
	scratch_store_b128 off, v[0:3], off     ; 16-byte Folded Spill
	v_fma_f64 v[30:31], v[18:19], s[36:37], v[8:9]
	v_fma_f64 v[8:9], v[18:19], s[36:37], -v[8:9]
	v_fma_f64 v[32:33], v[18:19], s[34:35], v[10:11]
	v_fma_f64 v[10:11], v[18:19], s[34:35], -v[10:11]
	v_fma_f64 v[34:35], v[18:19], s[30:31], v[12:13]
	v_fma_f64 v[12:13], v[18:19], s[30:31], -v[12:13]
	v_fma_f64 v[36:37], v[18:19], s[28:29], v[14:15]
	v_fma_f64 v[14:15], v[18:19], s[28:29], -v[14:15]
	v_fma_f64 v[94:95], v[18:19], s[20:21], v[16:17]
	v_fma_f64 v[16:17], v[18:19], s[20:21], -v[16:17]
	v_mul_f64_e32 v[18:19], s[36:37], v[20:21]
	v_fma_f64 v[104:105], v[22:23], s[18:19], v[82:83]
	v_fma_f64 v[108:109], v[22:23], s[16:17], v[84:85]
	;; [unrolled: 1-line block ×4, first 2 shown]
	v_mul_f64_e32 v[20:21], s[20:21], v[20:21]
	v_fma_f64 v[102:103], v[22:23], s[48:49], v[82:83]
	v_fma_f64 v[106:107], v[22:23], s[42:43], v[84:85]
	;; [unrolled: 1-line block ×8, first 2 shown]
	v_add_f64_e32 v[38:39], v[4:5], v[38:39]
	v_add_f64_e32 v[214:215], v[4:5], v[26:27]
	;; [unrolled: 1-line block ×4, first 2 shown]
	v_mul_f64_e32 v[92:93], s[22:23], v[158:159]
	v_mul_f64_e32 v[90:91], s[26:27], v[154:155]
	;; [unrolled: 1-line block ×7, first 2 shown]
	v_add_f64_e32 v[0:1], v[4:5], v[8:9]
	v_add_f64_e32 v[8:9], v[4:5], v[32:33]
	;; [unrolled: 1-line block ×5, first 2 shown]
	v_fma_f64 v[100:101], v[22:23], s[40:41], v[18:19]
	v_fma_f64 v[18:19], v[22:23], s[38:39], v[18:19]
	;; [unrolled: 1-line block ×5, first 2 shown]
	v_add_f64_e32 v[22:23], v[4:5], v[30:31]
	v_add_f64_e32 v[34:35], v[6:7], v[106:107]
	;; [unrolled: 1-line block ×8, first 2 shown]
	v_mul_f64_e32 v[114:115], s[0:1], v[46:47]
	v_mul_f64_e32 v[126:127], s[14:15], v[200:201]
	;; [unrolled: 1-line block ×3, first 2 shown]
	scratch_store_b64 off, v[0:1], off offset:32 ; 8-byte Folded Spill
	v_add_f64_e32 v[30:31], v[6:7], v[100:101]
	v_add_f64_e32 v[0:1], v[6:7], v[18:19]
	;; [unrolled: 1-line block ×3, first 2 shown]
	v_mul_f64_e32 v[102:103], s[24:25], v[186:187]
	v_mul_f64_e32 v[100:101], s[20:21], v[162:163]
	v_add_f64_e32 v[106:107], v[6:7], v[130:131]
	v_add_f64_e32 v[123:124], v[6:7], v[20:21]
	v_mul_f64_e32 v[130:131], s[10:11], v[192:193]
	scratch_store_b64 off, v[0:1], off offset:40 ; 8-byte Folded Spill
	v_add_f64_e32 v[0:1], v[4:5], v[10:11]
	scratch_store_b64 off, v[0:1], off offset:56 ; 8-byte Folded Spill
	v_add_f64_e32 v[0:1], v[6:7], v[104:105]
	v_add_f64_e32 v[104:105], v[4:5], v[94:95]
	v_mul_f64_e32 v[94:95], s[38:39], v[192:193]
	scratch_store_b64 off, v[0:1], off offset:48 ; 8-byte Folded Spill
	v_add_f64_e32 v[0:1], v[4:5], v[12:13]
	v_fma_f64 v[12:13], v[68:69], s[24:25], v[130:131]
	scratch_store_b64 off, v[0:1], off offset:144 ; 8-byte Folded Spill
	v_add_f64_e32 v[0:1], v[6:7], v[108:109]
	scratch_store_b64 off, v[0:1], off offset:136 ; 8-byte Folded Spill
	v_add_f64_e32 v[0:1], v[4:5], v[14:15]
	v_fma_f64 v[14:15], v[80:81], s[52:53], v[168:169]
	scratch_store_b64 off, v[0:1], off offset:160 ; 8-byte Folded Spill
	v_add_f64_e32 v[0:1], v[6:7], v[112:113]
	v_mul_f64_e32 v[112:113], s[22:23], v[40:41]
	v_add_f64_e32 v[14:15], v[14:15], v[34:35]
	v_mul_f64_e32 v[34:35], s[30:31], v[162:163]
	scratch_store_b64 off, v[0:1], off offset:152 ; 8-byte Folded Spill
	v_add_f64_e32 v[0:1], v[4:5], v[24:25]
	v_add_f64_e32 v[24:25], v[4:5], v[88:89]
	v_mul_f64_e32 v[88:89], s[40:41], v[46:47]
	scratch_store_b64 off, v[0:1], off offset:176 ; 8-byte Folded Spill
	v_add_f64_e32 v[0:1], v[6:7], v[116:117]
	v_mul_f64_e32 v[116:117], s[20:21], v[44:45]
	scratch_store_b64 off, v[0:1], off offset:168 ; 8-byte Folded Spill
	v_mul_f64_e32 v[0:1], s[18:19], v[200:201]
	scratch_store_b64 off, v[0:1], off offset:64 ; 8-byte Folded Spill
	v_fma_f64 v[4:5], v[78:79], s[34:35], v[0:1]
	v_mul_f64_e32 v[0:1], s[34:35], v[194:195]
	s_delay_alu instid0(VALU_DEP_2) | instskip(SKIP_4) | instid1(VALU_DEP_3)
	v_add_f64_e32 v[4:5], v[4:5], v[22:23]
	scratch_store_b64 off, v[0:1], off offset:72 ; 8-byte Folded Spill
	v_fma_f64 v[6:7], v[80:81], s[48:49], v[0:1]
	v_mul_f64_e32 v[0:1], s[16:17], v[192:193]
	v_fma_f64 v[22:23], v[80:81], s[4:5], v[28:29]
	v_add_f64_e32 v[6:7], v[6:7], v[30:31]
	scratch_store_b64 off, v[0:1], off offset:80 ; 8-byte Folded Spill
	v_fma_f64 v[10:11], v[68:69], s[30:31], v[0:1]
	v_mul_f64_e32 v[0:1], s[30:31], v[186:187]
	v_mul_f64_e32 v[30:31], s[48:49], v[192:193]
	v_add_f64_e32 v[22:23], v[22:23], v[210:211]
	v_fma_f64 v[210:211], v[68:69], s[36:37], v[94:95]
	v_add_f64_e32 v[4:5], v[10:11], v[4:5]
	scratch_store_b64 off, v[0:1], off offset:88 ; 8-byte Folded Spill
	v_fma_f64 v[10:11], v[70:71], s[42:43], v[0:1]
	v_mul_f64_e32 v[0:1], s[14:15], v[164:165]
	s_delay_alu instid0(VALU_DEP_2) | instskip(SKIP_3) | instid1(VALU_DEP_2)
	v_add_f64_e32 v[6:7], v[10:11], v[6:7]
	scratch_store_b64 off, v[0:1], off offset:96 ; 8-byte Folded Spill
	v_fma_f64 v[10:11], v[64:65], s[28:29], v[0:1]
	v_mul_f64_e32 v[0:1], s[28:29], v[162:163]
	v_add_f64_e32 v[4:5], v[10:11], v[4:5]
	scratch_store_b64 off, v[0:1], off offset:104 ; 8-byte Folded Spill
	v_fma_f64 v[10:11], v[66:67], s[54:55], v[0:1]
	v_mul_f64_e32 v[0:1], s[12:13], v[160:161]
	s_delay_alu instid0(VALU_DEP_2) | instskip(SKIP_3) | instid1(VALU_DEP_2)
	v_add_f64_e32 v[6:7], v[10:11], v[6:7]
	scratch_store_b64 off, v[0:1], off offset:112 ; 8-byte Folded Spill
	v_fma_f64 v[10:11], v[60:61], s[26:27], v[0:1]
	v_mul_f64_e32 v[0:1], s[26:27], v[158:159]
	v_add_f64_e32 v[4:5], v[10:11], v[4:5]
	scratch_store_b64 off, v[0:1], off offset:120 ; 8-byte Folded Spill
	v_fma_f64 v[10:11], v[62:63], s[44:45], v[0:1]
	v_mul_f64_e32 v[0:1], s[10:11], v[156:157]
	s_delay_alu instid0(VALU_DEP_2) | instskip(NEXT) | instid1(VALU_DEP_2)
	v_add_f64_e32 v[6:7], v[10:11], v[6:7]
	v_fma_f64 v[10:11], v[56:57], s[24:25], v[0:1]
	scratch_store_b64 off, v[0:1], off offset:128 ; 8-byte Folded Spill
	v_add_f64_e32 v[4:5], v[10:11], v[4:5]
	v_fma_f64 v[10:11], v[58:59], s[52:53], v[118:119]
	s_delay_alu instid0(VALU_DEP_1) | instskip(SKIP_1) | instid1(VALU_DEP_1)
	v_add_f64_e32 v[6:7], v[10:11], v[6:7]
	v_fma_f64 v[10:11], v[52:53], s[22:23], v[150:151]
	v_add_f64_e32 v[4:5], v[10:11], v[4:5]
	v_fma_f64 v[10:11], v[54:55], s[46:47], v[112:113]
	s_delay_alu instid0(VALU_DEP_1) | instskip(SKIP_1) | instid1(VALU_DEP_1)
	v_add_f64_e32 v[6:7], v[10:11], v[6:7]
	v_fma_f64 v[10:11], v[48:49], s[20:21], v[114:115]
	v_add_f64_e32 v[0:1], v[10:11], v[4:5]
	v_fma_f64 v[10:11], v[50:51], s[50:51], v[116:117]
	v_mul_f64_e32 v[4:5], s[0:1], v[160:161]
	s_delay_alu instid0(VALU_DEP_2)
	v_add_f64_e32 v[2:3], v[10:11], v[6:7]
	v_fma_f64 v[10:11], v[78:79], s[28:29], v[126:127]
	scratch_store_b128 off, v[0:3], off offset:16 ; 16-byte Folded Spill
	v_add_f64_e32 v[8:9], v[10:11], v[8:9]
	v_fma_f64 v[10:11], v[80:81], s[54:55], v[128:129]
	v_fma_f64 v[2:3], v[48:49], s[34:35], v[86:87]
	v_mul_f64_e32 v[0:1], s[36:37], v[186:187]
	s_delay_alu instid0(VALU_DEP_4) | instskip(NEXT) | instid1(VALU_DEP_4)
	v_add_f64_e32 v[8:9], v[12:13], v[8:9]
	v_add_f64_e32 v[10:11], v[10:11], v[18:19]
	v_fma_f64 v[12:13], v[70:71], s[52:53], v[102:103]
	v_fma_f64 v[18:19], v[80:81], s[50:51], v[236:237]
	s_delay_alu instid0(VALU_DEP_2) | instskip(SKIP_1) | instid1(VALU_DEP_3)
	v_add_f64_e32 v[10:11], v[12:13], v[10:11]
	v_fma_f64 v[12:13], v[64:65], s[20:21], v[134:135]
	v_add_f64_e32 v[18:19], v[18:19], v[208:209]
	v_mul_f64_e32 v[208:209], s[44:45], v[192:193]
	s_delay_alu instid0(VALU_DEP_3) | instskip(SKIP_1) | instid1(VALU_DEP_3)
	v_add_f64_e32 v[8:9], v[12:13], v[8:9]
	v_fma_f64 v[12:13], v[66:67], s[50:51], v[100:101]
	v_fma_f64 v[20:21], v[68:69], s[26:27], v[208:209]
	s_delay_alu instid0(VALU_DEP_2) | instskip(SKIP_1) | instid1(VALU_DEP_1)
	v_add_f64_e32 v[10:11], v[12:13], v[10:11]
	v_fma_f64 v[12:13], v[60:61], s[22:23], v[138:139]
	v_add_f64_e32 v[8:9], v[12:13], v[8:9]
	v_fma_f64 v[12:13], v[62:63], s[4:5], v[92:93]
	s_delay_alu instid0(VALU_DEP_1) | instskip(SKIP_1) | instid1(VALU_DEP_1)
	v_add_f64_e32 v[10:11], v[12:13], v[10:11]
	v_fma_f64 v[12:13], v[56:57], s[26:27], v[142:143]
	v_add_f64_e32 v[8:9], v[12:13], v[8:9]
	v_fma_f64 v[12:13], v[58:59], s[12:13], v[90:91]
	s_delay_alu instid0(VALU_DEP_1) | instskip(SKIP_1) | instid1(VALU_DEP_1)
	;; [unrolled: 5-line block ×3, first 2 shown]
	v_add_f64_e32 v[10:11], v[12:13], v[10:11]
	v_fma_f64 v[12:13], v[48:49], s[36:37], v[88:89]
	v_add_f64_e32 v[108:109], v[12:13], v[8:9]
	v_fma_f64 v[12:13], v[50:51], s[38:39], v[152:153]
	v_mul_f64_e32 v[8:9], s[20:21], v[158:159]
	s_delay_alu instid0(VALU_DEP_2) | instskip(SKIP_3) | instid1(VALU_DEP_3)
	v_add_f64_e32 v[110:111], v[12:13], v[10:11]
	v_fma_f64 v[12:13], v[78:79], s[24:25], v[166:167]
	v_fma_f64 v[10:11], v[60:61], s[20:21], v[4:5]
	v_fma_f64 v[4:5], v[60:61], s[20:21], -v[4:5]
	v_add_f64_e32 v[12:13], v[12:13], v[32:33]
	v_fma_f64 v[32:33], v[68:69], s[34:35], v[30:31]
	s_delay_alu instid0(VALU_DEP_2) | instskip(SKIP_1) | instid1(VALU_DEP_1)
	v_add_f64_e32 v[12:13], v[16:17], v[12:13]
	v_fma_f64 v[16:17], v[70:71], s[0:1], v[172:173]
	v_add_f64_e32 v[14:15], v[16:17], v[14:15]
	v_fma_f64 v[16:17], v[64:65], s[26:27], v[174:175]
	s_delay_alu instid0(VALU_DEP_1) | instskip(SKIP_1) | instid1(VALU_DEP_1)
	v_add_f64_e32 v[12:13], v[16:17], v[12:13]
	v_fma_f64 v[16:17], v[66:67], s[12:13], v[176:177]
	v_add_f64_e32 v[14:15], v[16:17], v[14:15]
	v_fma_f64 v[16:17], v[60:61], s[34:35], v[178:179]
	s_delay_alu instid0(VALU_DEP_1) | instskip(SKIP_1) | instid1(VALU_DEP_1)
	;; [unrolled: 5-line block ×4, first 2 shown]
	v_add_f64_e32 v[12:13], v[16:17], v[12:13]
	v_fma_f64 v[16:17], v[54:55], s[54:55], v[190:191]
	v_add_f64_e32 v[14:15], v[16:17], v[14:15]
	v_fma_f64 v[16:17], v[48:49], s[22:23], v[196:197]
	s_delay_alu instid0(VALU_DEP_1) | instskip(SKIP_2) | instid1(VALU_DEP_2)
	v_add_f64_e32 v[202:203], v[16:17], v[12:13]
	v_fma_f64 v[16:17], v[50:51], s[46:47], v[198:199]
	v_mul_f64_e32 v[12:13], s[28:29], v[154:155]
	v_add_f64_e32 v[204:205], v[16:17], v[14:15]
	v_fma_f64 v[16:17], v[78:79], s[20:21], v[234:235]
	v_fma_f64 v[14:15], v[62:63], s[50:51], v[8:9]
	s_delay_alu instid0(VALU_DEP_2) | instskip(NEXT) | instid1(VALU_DEP_1)
	v_add_f64_e32 v[16:17], v[16:17], v[36:37]
	v_add_f64_e32 v[16:17], v[20:21], v[16:17]
	v_fma_f64 v[20:21], v[70:71], s[12:13], v[238:239]
	s_delay_alu instid0(VALU_DEP_1) | instskip(SKIP_1) | instid1(VALU_DEP_1)
	v_add_f64_e32 v[18:19], v[20:21], v[18:19]
	v_fma_f64 v[20:21], v[64:65], s[36:37], v[240:241]
	v_add_f64_e32 v[16:17], v[20:21], v[16:17]
	v_fma_f64 v[20:21], v[66:67], s[38:39], v[242:243]
	s_delay_alu instid0(VALU_DEP_1) | instskip(SKIP_1) | instid1(VALU_DEP_1)
	v_add_f64_e32 v[18:19], v[20:21], v[18:19]
	v_fma_f64 v[20:21], v[60:61], s[30:31], v[244:245]
	;; [unrolled: 5-line block ×4, first 2 shown]
	v_add_f64_e32 v[16:17], v[20:21], v[16:17]
	v_fma_f64 v[20:21], v[54:55], s[10:11], v[254:255]
	s_delay_alu instid0(VALU_DEP_2) | instskip(NEXT) | instid1(VALU_DEP_2)
	v_add_f64_e32 v[96:97], v[2:3], v[16:17]
	v_add_f64_e32 v[18:19], v[20:21], v[18:19]
	v_fma_f64 v[20:21], v[50:51], s[18:19], v[84:85]
	v_mul_f64_e32 v[2:3], s[34:35], v[186:187]
	v_mul_f64_e32 v[16:17], s[38:39], v[42:43]
	s_delay_alu instid0(VALU_DEP_3) | instskip(SKIP_1) | instid1(VALU_DEP_4)
	v_add_f64_e32 v[98:99], v[20:21], v[18:19]
	v_fma_f64 v[20:21], v[78:79], s[22:23], v[26:27]
	v_fma_f64 v[6:7], v[70:71], s[18:19], v[2:3]
	s_delay_alu instid0(VALU_DEP_4) | instskip(SKIP_1) | instid1(VALU_DEP_4)
	v_fma_f64 v[18:19], v[52:53], s[36:37], v[16:17]
	v_fma_f64 v[2:3], v[70:71], s[48:49], v[2:3]
	v_add_f64_e32 v[20:21], v[20:21], v[38:39]
	s_delay_alu instid0(VALU_DEP_4) | instskip(NEXT) | instid1(VALU_DEP_2)
	v_add_f64_e32 v[6:7], v[6:7], v[22:23]
	v_add_f64_e32 v[20:21], v[32:33], v[20:21]
	v_mul_f64_e32 v[32:33], s[16:17], v[164:165]
	s_delay_alu instid0(VALU_DEP_1) | instskip(NEXT) | instid1(VALU_DEP_1)
	v_fma_f64 v[22:23], v[64:65], s[30:31], v[32:33]
	v_add_f64_e32 v[20:21], v[22:23], v[20:21]
	v_fma_f64 v[22:23], v[66:67], s[42:43], v[34:35]
	s_delay_alu instid0(VALU_DEP_2) | instskip(NEXT) | instid1(VALU_DEP_2)
	v_add_f64_e32 v[10:11], v[10:11], v[20:21]
	v_add_f64_e32 v[6:7], v[22:23], v[6:7]
	s_delay_alu instid0(VALU_DEP_1) | instskip(SKIP_1) | instid1(VALU_DEP_1)
	v_add_f64_e32 v[6:7], v[14:15], v[6:7]
	v_mul_f64_e32 v[14:15], s[54:55], v[156:157]
	v_fma_f64 v[20:21], v[56:57], s[28:29], v[14:15]
	s_delay_alu instid0(VALU_DEP_1) | instskip(SKIP_1) | instid1(VALU_DEP_2)
	v_add_f64_e32 v[10:11], v[20:21], v[10:11]
	v_fma_f64 v[20:21], v[58:59], s[14:15], v[12:13]
	v_add_f64_e32 v[10:11], v[18:19], v[10:11]
	s_delay_alu instid0(VALU_DEP_2) | instskip(SKIP_2) | instid1(VALU_DEP_2)
	v_add_f64_e32 v[6:7], v[20:21], v[6:7]
	v_fma_f64 v[20:21], v[54:55], s[40:41], v[82:83]
	v_mul_f64_e32 v[18:19], s[10:11], v[46:47]
	v_add_f64_e32 v[6:7], v[20:21], v[6:7]
	s_delay_alu instid0(VALU_DEP_2) | instskip(NEXT) | instid1(VALU_DEP_1)
	v_fma_f64 v[20:21], v[48:49], s[24:25], v[18:19]
	v_add_f64_e32 v[20:21], v[20:21], v[10:11]
	v_mul_f64_e32 v[10:11], s[24:25], v[44:45]
	s_delay_alu instid0(VALU_DEP_1) | instskip(NEXT) | instid1(VALU_DEP_1)
	v_fma_f64 v[22:23], v[50:51], s[52:53], v[10:11]
	v_add_f64_e32 v[22:23], v[22:23], v[6:7]
	v_mul_f64_e32 v[6:7], s[44:45], v[200:201]
	s_delay_alu instid0(VALU_DEP_1) | instskip(SKIP_1) | instid1(VALU_DEP_2)
	v_fma_f64 v[36:37], v[78:79], s[26:27], v[6:7]
	v_fma_f64 v[6:7], v[78:79], s[26:27], -v[6:7]
	v_add_f64_e32 v[24:25], v[36:37], v[24:25]
	v_mul_f64_e32 v[36:37], s[26:27], v[194:195]
	s_delay_alu instid0(VALU_DEP_3) | instskip(NEXT) | instid1(VALU_DEP_3)
	v_add_f64_e32 v[6:7], v[6:7], v[214:215]
	v_add_f64_e32 v[24:25], v[210:211], v[24:25]
	s_delay_alu instid0(VALU_DEP_3) | instskip(SKIP_3) | instid1(VALU_DEP_4)
	v_fma_f64 v[38:39], v[80:81], s[12:13], v[36:37]
	v_fma_f64 v[210:211], v[70:71], s[40:41], v[0:1]
	;; [unrolled: 1-line block ×4, first 2 shown]
	v_add_f64_e32 v[38:39], v[38:39], v[212:213]
	s_delay_alu instid0(VALU_DEP_3) | instskip(NEXT) | instid1(VALU_DEP_2)
	v_add_f64_e32 v[36:37], v[36:37], v[216:217]
	v_add_f64_e32 v[38:39], v[210:211], v[38:39]
	v_fma_f64 v[210:211], v[64:65], s[22:23], v[74:75]
	s_delay_alu instid0(VALU_DEP_3) | instskip(SKIP_1) | instid1(VALU_DEP_3)
	v_add_f64_e32 v[0:1], v[0:1], v[36:37]
	v_fma_f64 v[36:37], v[64:65], s[22:23], -v[74:75]
	v_add_f64_e32 v[24:25], v[210:211], v[24:25]
	v_fma_f64 v[210:211], v[66:67], s[46:47], v[132:133]
	s_delay_alu instid0(VALU_DEP_1) | instskip(SKIP_1) | instid1(VALU_DEP_1)
	v_add_f64_e32 v[38:39], v[210:211], v[38:39]
	v_fma_f64 v[210:211], v[60:61], s[28:29], v[136:137]
	v_add_f64_e32 v[24:25], v[210:211], v[24:25]
	v_fma_f64 v[210:211], v[62:63], s[14:15], v[226:227]
	s_delay_alu instid0(VALU_DEP_1) | instskip(SKIP_1) | instid1(VALU_DEP_1)
	v_add_f64_e32 v[38:39], v[210:211], v[38:39]
	v_fma_f64 v[210:211], v[56:57], s[34:35], v[140:141]
	;; [unrolled: 5-line block ×4, first 2 shown]
	v_add_f64_e32 v[210:211], v[210:211], v[24:25]
	v_mul_f64_e32 v[24:25], s[30:31], v[44:45]
	s_delay_alu instid0(VALU_DEP_1) | instskip(SKIP_1) | instid1(VALU_DEP_2)
	v_fma_f64 v[212:213], v[50:51], s[16:17], v[24:25]
	v_fma_f64 v[24:25], v[50:51], s[42:43], v[24:25]
	v_add_f64_e32 v[212:213], v[212:213], v[38:39]
	v_fma_f64 v[38:39], v[68:69], s[36:37], -v[94:95]
	s_delay_alu instid0(VALU_DEP_1) | instskip(SKIP_1) | instid1(VALU_DEP_2)
	v_add_f64_e32 v[6:7], v[38:39], v[6:7]
	v_mul_f64_e32 v[38:39], s[14:15], v[192:193]
	v_add_f64_e32 v[6:7], v[36:37], v[6:7]
	v_fma_f64 v[36:37], v[66:67], s[4:5], v[132:133]
	s_delay_alu instid0(VALU_DEP_3) | instskip(NEXT) | instid1(VALU_DEP_2)
	v_fma_f64 v[74:75], v[68:69], s[28:29], v[38:39]
	v_add_f64_e32 v[0:1], v[36:37], v[0:1]
	v_fma_f64 v[36:37], v[60:61], s[28:29], -v[136:137]
	s_delay_alu instid0(VALU_DEP_1) | instskip(SKIP_2) | instid1(VALU_DEP_2)
	v_add_f64_e32 v[6:7], v[36:37], v[6:7]
	v_fma_f64 v[36:37], v[62:63], s[54:55], v[226:227]
	v_mul_f64_e32 v[226:227], s[34:35], v[40:41]
	v_add_f64_e32 v[0:1], v[36:37], v[0:1]
	v_fma_f64 v[36:37], v[56:57], s[34:35], -v[140:141]
	s_delay_alu instid0(VALU_DEP_1) | instskip(SKIP_3) | instid1(VALU_DEP_3)
	v_add_f64_e32 v[6:7], v[36:37], v[6:7]
	v_fma_f64 v[36:37], v[58:59], s[18:19], v[228:229]
	v_mul_f64_e32 v[228:229], s[12:13], v[46:47]
	v_mul_f64_e32 v[46:47], s[54:55], v[46:47]
	v_add_f64_e32 v[0:1], v[36:37], v[0:1]
	v_fma_f64 v[36:37], v[52:53], s[20:21], -v[144:145]
	s_delay_alu instid0(VALU_DEP_1) | instskip(SKIP_1) | instid1(VALU_DEP_1)
	v_add_f64_e32 v[6:7], v[36:37], v[6:7]
	v_fma_f64 v[36:37], v[54:55], s[0:1], v[206:207]
	v_add_f64_e32 v[0:1], v[36:37], v[0:1]
	v_fma_f64 v[36:37], v[48:49], s[30:31], -v[76:77]
	s_delay_alu instid0(VALU_DEP_2) | instskip(SKIP_1) | instid1(VALU_DEP_3)
	v_add_f64_e32 v[216:217], v[24:25], v[0:1]
	v_mul_f64_e32 v[0:1], s[42:43], v[200:201]
	v_add_f64_e32 v[214:215], v[36:37], v[6:7]
	v_mul_f64_e32 v[24:25], s[30:31], v[194:195]
	s_delay_alu instid0(VALU_DEP_3) | instskip(SKIP_1) | instid1(VALU_DEP_3)
	v_fma_f64 v[6:7], v[78:79], s[30:31], v[0:1]
	v_fma_f64 v[0:1], v[78:79], s[30:31], -v[0:1]
	v_fma_f64 v[36:37], v[80:81], s[16:17], v[24:25]
	v_fma_f64 v[24:25], v[80:81], s[42:43], v[24:25]
	s_delay_alu instid0(VALU_DEP_4) | instskip(NEXT) | instid1(VALU_DEP_4)
	v_add_f64_e32 v[6:7], v[6:7], v[218:219]
	v_add_f64_e32 v[0:1], v[0:1], v[222:223]
	s_delay_alu instid0(VALU_DEP_4) | instskip(NEXT) | instid1(VALU_DEP_4)
	v_add_f64_e32 v[36:37], v[36:37], v[220:221]
	v_add_f64_e32 v[24:25], v[24:25], v[224:225]
	s_delay_alu instid0(VALU_DEP_4) | instskip(SKIP_1) | instid1(VALU_DEP_1)
	v_add_f64_e32 v[6:7], v[74:75], v[6:7]
	v_mul_f64_e32 v[74:75], s[28:29], v[186:187]
	v_fma_f64 v[76:77], v[70:71], s[54:55], v[74:75]
	s_delay_alu instid0(VALU_DEP_1) | instskip(SKIP_1) | instid1(VALU_DEP_1)
	v_add_f64_e32 v[36:37], v[76:77], v[36:37]
	v_mul_f64_e32 v[76:77], s[52:53], v[164:165]
	v_fma_f64 v[94:95], v[64:65], s[24:25], v[76:77]
	s_delay_alu instid0(VALU_DEP_1) | instskip(SKIP_1) | instid1(VALU_DEP_1)
	;; [unrolled: 4-line block ×8, first 2 shown]
	v_add_f64_e32 v[6:7], v[218:219], v[6:7]
	v_fma_f64 v[218:219], v[54:55], s[18:19], v[226:227]
	v_add_f64_e32 v[36:37], v[218:219], v[36:37]
	v_fma_f64 v[218:219], v[48:49], s[26:27], v[228:229]
	s_delay_alu instid0(VALU_DEP_1) | instskip(SKIP_2) | instid1(VALU_DEP_2)
	v_add_f64_e32 v[218:219], v[218:219], v[6:7]
	v_mul_f64_e32 v[6:7], s[26:27], v[44:45]
	v_mul_f64_e32 v[44:45], s[28:29], v[44:45]
	v_fma_f64 v[220:221], v[50:51], s[44:45], v[6:7]
	v_fma_f64 v[6:7], v[50:51], s[12:13], v[6:7]
	s_delay_alu instid0(VALU_DEP_2) | instskip(SKIP_1) | instid1(VALU_DEP_1)
	v_add_f64_e32 v[220:221], v[220:221], v[36:37]
	v_fma_f64 v[36:37], v[68:69], s[28:29], -v[38:39]
	v_add_f64_e32 v[0:1], v[36:37], v[0:1]
	v_fma_f64 v[36:37], v[70:71], s[14:15], v[74:75]
	s_delay_alu instid0(VALU_DEP_1) | instskip(SKIP_2) | instid1(VALU_DEP_2)
	v_add_f64_e32 v[24:25], v[36:37], v[24:25]
	v_fma_f64 v[36:37], v[64:65], s[24:25], -v[76:77]
	v_mul_f64_e32 v[76:77], s[4:5], v[192:193]
	v_add_f64_e32 v[0:1], v[36:37], v[0:1]
	v_fma_f64 v[36:37], v[66:67], s[52:53], v[94:95]
	s_delay_alu instid0(VALU_DEP_3) | instskip(NEXT) | instid1(VALU_DEP_2)
	v_fma_f64 v[94:95], v[68:69], s[22:23], v[76:77]
	v_add_f64_e32 v[24:25], v[36:37], v[24:25]
	v_fma_f64 v[36:37], v[60:61], s[36:37], -v[132:133]
	s_delay_alu instid0(VALU_DEP_1) | instskip(SKIP_1) | instid1(VALU_DEP_1)
	v_add_f64_e32 v[0:1], v[36:37], v[0:1]
	v_fma_f64 v[36:37], v[62:63], s[38:39], v[136:137]
	v_add_f64_e32 v[24:25], v[36:37], v[24:25]
	v_fma_f64 v[36:37], v[56:57], s[20:21], -v[140:141]
	s_delay_alu instid0(VALU_DEP_1) | instskip(SKIP_1) | instid1(VALU_DEP_1)
	v_add_f64_e32 v[0:1], v[36:37], v[0:1]
	;; [unrolled: 5-line block ×3, first 2 shown]
	v_fma_f64 v[36:37], v[54:55], s[48:49], v[226:227]
	v_add_f64_e32 v[24:25], v[36:37], v[24:25]
	v_fma_f64 v[36:37], v[48:49], s[26:27], -v[228:229]
	s_delay_alu instid0(VALU_DEP_2) | instskip(NEXT) | instid1(VALU_DEP_2)
	v_add_f64_e32 v[38:39], v[6:7], v[24:25]
	v_add_f64_e32 v[36:37], v[36:37], v[0:1]
	v_mul_f64_e32 v[0:1], s[40:41], v[200:201]
	v_mul_f64_e32 v[24:25], s[36:37], v[194:195]
	s_delay_alu instid0(VALU_DEP_2) | instskip(NEXT) | instid1(VALU_DEP_2)
	v_fma_f64 v[6:7], v[78:79], s[36:37], v[0:1]
	v_fma_f64 v[74:75], v[80:81], s[38:39], v[24:25]
	v_fma_f64 v[0:1], v[78:79], s[36:37], -v[0:1]
	s_delay_alu instid0(VALU_DEP_3) | instskip(NEXT) | instid1(VALU_DEP_3)
	v_add_f64_e32 v[6:7], v[6:7], v[104:105]
	v_add_f64_e32 v[74:75], v[74:75], v[106:107]
	s_delay_alu instid0(VALU_DEP_3) | instskip(NEXT) | instid1(VALU_DEP_3)
	v_add_f64_e32 v[0:1], v[0:1], v[121:122]
	v_add_f64_e32 v[6:7], v[94:95], v[6:7]
	v_mul_f64_e32 v[94:95], s[22:23], v[186:187]
	s_delay_alu instid0(VALU_DEP_1) | instskip(NEXT) | instid1(VALU_DEP_1)
	v_fma_f64 v[104:105], v[70:71], s[46:47], v[94:95]
	v_add_f64_e32 v[74:75], v[104:105], v[74:75]
	v_mul_f64_e32 v[104:105], s[48:49], v[164:165]
	s_delay_alu instid0(VALU_DEP_1) | instskip(NEXT) | instid1(VALU_DEP_1)
	v_fma_f64 v[106:107], v[64:65], s[34:35], v[104:105]
	v_add_f64_e32 v[6:7], v[106:107], v[6:7]
	v_mul_f64_e32 v[106:107], s[34:35], v[162:163]
	s_delay_alu instid0(VALU_DEP_1) | instskip(NEXT) | instid1(VALU_DEP_1)
	v_fma_f64 v[132:133], v[66:67], s[18:19], v[106:107]
	v_add_f64_e32 v[74:75], v[132:133], v[74:75]
	v_mul_f64_e32 v[132:133], s[10:11], v[160:161]
	s_delay_alu instid0(VALU_DEP_1) | instskip(NEXT) | instid1(VALU_DEP_1)
	v_fma_f64 v[136:137], v[60:61], s[24:25], v[132:133]
	v_add_f64_e32 v[6:7], v[136:137], v[6:7]
	v_mul_f64_e32 v[136:137], s[24:25], v[158:159]
	s_delay_alu instid0(VALU_DEP_1) | instskip(NEXT) | instid1(VALU_DEP_1)
	v_fma_f64 v[140:141], v[62:63], s[52:53], v[136:137]
	v_add_f64_e32 v[74:75], v[140:141], v[74:75]
	v_mul_f64_e32 v[140:141], s[42:43], v[156:157]
	v_mul_f64_e32 v[156:157], s[26:27], v[40:41]
	s_delay_alu instid0(VALU_DEP_2) | instskip(NEXT) | instid1(VALU_DEP_2)
	v_fma_f64 v[144:145], v[56:57], s[30:31], v[140:141]
	v_fma_f64 v[40:41], v[54:55], s[44:45], v[156:157]
	s_delay_alu instid0(VALU_DEP_2) | instskip(SKIP_1) | instid1(VALU_DEP_1)
	v_add_f64_e32 v[6:7], v[144:145], v[6:7]
	v_mul_f64_e32 v[144:145], s[30:31], v[154:155]
	v_fma_f64 v[154:155], v[58:59], s[16:17], v[144:145]
	s_delay_alu instid0(VALU_DEP_1) | instskip(SKIP_1) | instid1(VALU_DEP_1)
	v_add_f64_e32 v[74:75], v[154:155], v[74:75]
	v_mul_f64_e32 v[154:155], s[12:13], v[42:43]
	v_fma_f64 v[42:43], v[52:53], s[26:27], v[154:155]
	s_delay_alu instid0(VALU_DEP_1) | instskip(NEXT) | instid1(VALU_DEP_4)
	v_add_f64_e32 v[6:7], v[42:43], v[6:7]
	v_add_f64_e32 v[42:43], v[40:41], v[74:75]
	v_fma_f64 v[40:41], v[48:49], s[28:29], v[46:47]
	s_delay_alu instid0(VALU_DEP_1) | instskip(SKIP_1) | instid1(VALU_DEP_1)
	v_add_f64_e32 v[40:41], v[40:41], v[6:7]
	v_fma_f64 v[6:7], v[50:51], s[14:15], v[44:45]
	v_add_f64_e32 v[42:43], v[6:7], v[42:43]
	v_fma_f64 v[6:7], v[80:81], s[40:41], v[24:25]
	v_fma_f64 v[24:25], v[68:69], s[22:23], -v[76:77]
	s_delay_alu instid0(VALU_DEP_2) | instskip(NEXT) | instid1(VALU_DEP_2)
	v_add_f64_e32 v[6:7], v[6:7], v[123:124]
	v_add_f64_e32 v[0:1], v[24:25], v[0:1]
	v_fma_f64 v[24:25], v[70:71], s[4:5], v[94:95]
	s_delay_alu instid0(VALU_DEP_1) | instskip(SKIP_1) | instid1(VALU_DEP_1)
	v_add_f64_e32 v[6:7], v[24:25], v[6:7]
	v_fma_f64 v[24:25], v[64:65], s[34:35], -v[104:105]
	v_add_f64_e32 v[0:1], v[24:25], v[0:1]
	v_fma_f64 v[24:25], v[66:67], s[48:49], v[106:107]
	s_delay_alu instid0(VALU_DEP_1) | instskip(SKIP_1) | instid1(VALU_DEP_1)
	v_add_f64_e32 v[6:7], v[24:25], v[6:7]
	v_fma_f64 v[24:25], v[60:61], s[24:25], -v[132:133]
	;; [unrolled: 5-line block ×4, first 2 shown]
	v_add_f64_e32 v[0:1], v[24:25], v[0:1]
	v_fma_f64 v[24:25], v[54:55], s[12:13], v[156:157]
	s_delay_alu instid0(VALU_DEP_1) | instskip(SKIP_2) | instid1(VALU_DEP_2)
	v_add_f64_e32 v[6:7], v[24:25], v[6:7]
	v_fma_f64 v[24:25], v[48:49], s[28:29], -v[46:47]
	v_fma_f64 v[46:47], v[50:51], s[54:55], v[44:45]
	v_add_f64_e32 v[44:45], v[24:25], v[0:1]
	s_delay_alu instid0(VALU_DEP_2)
	v_add_f64_e32 v[46:47], v[46:47], v[6:7]
	s_clause 0x1
	scratch_load_b64 v[6:7], off, off offset:176 th:TH_LOAD_LU
	scratch_load_b64 v[24:25], off, off offset:168 th:TH_LOAD_LU
	v_fma_f64 v[0:1], v[78:79], s[22:23], -v[26:27]
	s_wait_loadcnt 0x1
	s_delay_alu instid0(VALU_DEP_1) | instskip(SKIP_2) | instid1(VALU_DEP_1)
	v_add_f64_e32 v[0:1], v[0:1], v[6:7]
	v_fma_f64 v[6:7], v[80:81], s[46:47], v[28:29]
	s_wait_loadcnt 0x0
	v_add_f64_e32 v[6:7], v[6:7], v[24:25]
	v_fma_f64 v[24:25], v[68:69], s[34:35], -v[30:31]
	s_delay_alu instid0(VALU_DEP_2) | instskip(NEXT) | instid1(VALU_DEP_2)
	v_add_f64_e32 v[2:3], v[2:3], v[6:7]
	v_add_f64_e32 v[0:1], v[24:25], v[0:1]
	v_fma_f64 v[6:7], v[64:65], s[30:31], -v[32:33]
	s_delay_alu instid0(VALU_DEP_1) | instskip(SKIP_1) | instid1(VALU_DEP_2)
	v_add_f64_e32 v[0:1], v[6:7], v[0:1]
	v_fma_f64 v[6:7], v[66:67], s[16:17], v[34:35]
	v_add_f64_e32 v[0:1], v[4:5], v[0:1]
	s_delay_alu instid0(VALU_DEP_2) | instskip(SKIP_2) | instid1(VALU_DEP_2)
	v_add_f64_e32 v[2:3], v[6:7], v[2:3]
	v_fma_f64 v[4:5], v[62:63], s[0:1], v[8:9]
	v_fma_f64 v[6:7], v[50:51], s[10:11], v[10:11]
	v_add_f64_e32 v[2:3], v[4:5], v[2:3]
	v_fma_f64 v[4:5], v[56:57], s[28:29], -v[14:15]
	s_delay_alu instid0(VALU_DEP_1) | instskip(SKIP_1) | instid1(VALU_DEP_1)
	v_add_f64_e32 v[0:1], v[4:5], v[0:1]
	v_fma_f64 v[4:5], v[58:59], s[54:55], v[12:13]
	v_add_f64_e32 v[2:3], v[4:5], v[2:3]
	v_fma_f64 v[4:5], v[52:53], s[36:37], -v[16:17]
	s_delay_alu instid0(VALU_DEP_1) | instskip(SKIP_1) | instid1(VALU_DEP_1)
	v_add_f64_e32 v[0:1], v[4:5], v[0:1]
	v_fma_f64 v[4:5], v[54:55], s[38:39], v[82:83]
	v_add_f64_e32 v[2:3], v[4:5], v[2:3]
	v_fma_f64 v[4:5], v[48:49], s[24:25], -v[18:19]
	s_delay_alu instid0(VALU_DEP_2)
	v_add_f64_e32 v[156:157], v[6:7], v[2:3]
	scratch_load_b64 v[2:3], off, off offset:160 th:TH_LOAD_LU ; 8-byte Folded Reload
	v_add_f64_e32 v[154:155], v[4:5], v[0:1]
	scratch_load_b64 v[4:5], off, off offset:152 th:TH_LOAD_LU ; 8-byte Folded Reload
	v_fma_f64 v[0:1], v[78:79], s[20:21], -v[234:235]
	v_fma_f64 v[6:7], v[50:51], s[48:49], v[84:85]
	s_wait_loadcnt 0x1
	s_delay_alu instid0(VALU_DEP_2) | instskip(SKIP_2) | instid1(VALU_DEP_1)
	v_add_f64_e32 v[0:1], v[0:1], v[2:3]
	v_fma_f64 v[2:3], v[80:81], s[0:1], v[236:237]
	s_wait_loadcnt 0x0
	v_add_f64_e32 v[2:3], v[2:3], v[4:5]
	v_fma_f64 v[4:5], v[68:69], s[26:27], -v[208:209]
	s_delay_alu instid0(VALU_DEP_1) | instskip(SKIP_1) | instid1(VALU_DEP_1)
	v_add_f64_e32 v[0:1], v[4:5], v[0:1]
	v_fma_f64 v[4:5], v[70:71], s[44:45], v[238:239]
	v_add_f64_e32 v[2:3], v[4:5], v[2:3]
	v_fma_f64 v[4:5], v[64:65], s[36:37], -v[240:241]
	s_delay_alu instid0(VALU_DEP_1) | instskip(SKIP_1) | instid1(VALU_DEP_1)
	v_add_f64_e32 v[0:1], v[4:5], v[0:1]
	v_fma_f64 v[4:5], v[66:67], s[40:41], v[242:243]
	v_add_f64_e32 v[2:3], v[4:5], v[2:3]
	v_fma_f64 v[4:5], v[60:61], s[30:31], -v[244:245]
	s_delay_alu instid0(VALU_DEP_1) | instskip(SKIP_1) | instid1(VALU_DEP_1)
	v_add_f64_e32 v[0:1], v[4:5], v[0:1]
	v_fma_f64 v[4:5], v[62:63], s[16:17], v[246:247]
	v_add_f64_e32 v[2:3], v[4:5], v[2:3]
	v_fma_f64 v[4:5], v[56:57], s[22:23], -v[248:249]
	s_delay_alu instid0(VALU_DEP_1) | instskip(SKIP_1) | instid1(VALU_DEP_1)
	v_add_f64_e32 v[0:1], v[4:5], v[0:1]
	v_fma_f64 v[4:5], v[58:59], s[4:5], v[250:251]
	v_add_f64_e32 v[2:3], v[4:5], v[2:3]
	v_fma_f64 v[4:5], v[52:53], s[24:25], -v[252:253]
	s_delay_alu instid0(VALU_DEP_1) | instskip(SKIP_1) | instid1(VALU_DEP_1)
	v_add_f64_e32 v[0:1], v[4:5], v[0:1]
	v_fma_f64 v[4:5], v[54:55], s[52:53], v[254:255]
	v_add_f64_e32 v[2:3], v[4:5], v[2:3]
	v_fma_f64 v[4:5], v[48:49], s[34:35], -v[86:87]
	s_delay_alu instid0(VALU_DEP_2)
	v_add_f64_e32 v[124:125], v[6:7], v[2:3]
	scratch_load_b64 v[2:3], off, off offset:144 th:TH_LOAD_LU ; 8-byte Folded Reload
	v_add_f64_e32 v[122:123], v[4:5], v[0:1]
	scratch_load_b64 v[4:5], off, off offset:136 th:TH_LOAD_LU ; 8-byte Folded Reload
	v_fma_f64 v[0:1], v[78:79], s[24:25], -v[166:167]
	v_fma_f64 v[6:7], v[50:51], s[4:5], v[198:199]
	s_wait_loadcnt 0x1
	s_delay_alu instid0(VALU_DEP_2) | instskip(SKIP_2) | instid1(VALU_DEP_1)
	v_add_f64_e32 v[0:1], v[0:1], v[2:3]
	v_fma_f64 v[2:3], v[80:81], s[10:11], v[168:169]
	s_wait_loadcnt 0x0
	v_add_f64_e32 v[2:3], v[2:3], v[4:5]
	v_fma_f64 v[4:5], v[68:69], s[20:21], -v[170:171]
	s_delay_alu instid0(VALU_DEP_1) | instskip(SKIP_1) | instid1(VALU_DEP_1)
	v_add_f64_e32 v[0:1], v[4:5], v[0:1]
	v_fma_f64 v[4:5], v[70:71], s[50:51], v[172:173]
	v_add_f64_e32 v[2:3], v[4:5], v[2:3]
	v_fma_f64 v[4:5], v[64:65], s[26:27], -v[174:175]
	s_delay_alu instid0(VALU_DEP_1) | instskip(SKIP_1) | instid1(VALU_DEP_1)
	v_add_f64_e32 v[0:1], v[4:5], v[0:1]
	v_fma_f64 v[4:5], v[66:67], s[44:45], v[176:177]
	v_add_f64_e32 v[2:3], v[4:5], v[2:3]
	v_fma_f64 v[4:5], v[60:61], s[34:35], -v[178:179]
	s_delay_alu instid0(VALU_DEP_1) | instskip(SKIP_1) | instid1(VALU_DEP_1)
	v_add_f64_e32 v[0:1], v[4:5], v[0:1]
	;; [unrolled: 39-line block ×3, first 2 shown]
	v_fma_f64 v[4:5], v[62:63], s[46:47], v[92:93]
	v_add_f64_e32 v[2:3], v[4:5], v[2:3]
	v_fma_f64 v[4:5], v[56:57], s[26:27], -v[142:143]
	s_delay_alu instid0(VALU_DEP_1) | instskip(SKIP_1) | instid1(VALU_DEP_1)
	v_add_f64_e32 v[0:1], v[4:5], v[0:1]
	v_fma_f64 v[4:5], v[58:59], s[44:45], v[90:91]
	v_add_f64_e32 v[2:3], v[4:5], v[2:3]
	v_fma_f64 v[4:5], v[52:53], s[30:31], -v[146:147]
	s_delay_alu instid0(VALU_DEP_1) | instskip(SKIP_1) | instid1(VALU_DEP_1)
	v_add_f64_e32 v[0:1], v[4:5], v[0:1]
	v_fma_f64 v[4:5], v[54:55], s[42:43], v[148:149]
	v_add_f64_e32 v[2:3], v[4:5], v[2:3]
	v_fma_f64 v[4:5], v[48:49], s[36:37], -v[88:89]
	s_delay_alu instid0(VALU_DEP_2) | instskip(NEXT) | instid1(VALU_DEP_2)
	v_add_f64_e32 v[128:129], v[6:7], v[2:3]
	v_add_f64_e32 v[126:127], v[4:5], v[0:1]
	s_clause 0x3
	scratch_load_b64 v[0:1], off, off offset:64 th:TH_LOAD_LU
	scratch_load_b64 v[6:7], off, off offset:88 th:TH_LOAD_LU
	;; [unrolled: 1-line block ×4, first 2 shown]
	s_wait_loadcnt 0x3
	v_fma_f64 v[0:1], v[78:79], s[34:35], -v[0:1]
	s_wait_loadcnt 0x2
	v_fma_f64 v[6:7], v[70:71], s[16:17], v[6:7]
	s_wait_loadcnt 0x1
	s_delay_alu instid0(VALU_DEP_2) | instskip(SKIP_4) | instid1(VALU_DEP_1)
	v_add_f64_e32 v[0:1], v[0:1], v[4:5]
	scratch_load_b64 v[4:5], off, off offset:40 th:TH_LOAD_LU ; 8-byte Folded Reload
	s_wait_loadcnt 0x1
	v_fma_f64 v[2:3], v[80:81], s[18:19], v[2:3]
	s_wait_loadcnt 0x0
	v_add_f64_e32 v[2:3], v[2:3], v[4:5]
	scratch_load_b64 v[4:5], off, off offset:80 th:TH_LOAD_LU ; 8-byte Folded Reload
	v_add_f64_e32 v[2:3], v[6:7], v[2:3]
	scratch_load_b64 v[6:7], off, off offset:104 th:TH_LOAD_LU ; 8-byte Folded Reload
	s_wait_loadcnt 0x1
	v_fma_f64 v[4:5], v[68:69], s[30:31], -v[4:5]
	s_delay_alu instid0(VALU_DEP_1) | instskip(SKIP_3) | instid1(VALU_DEP_1)
	v_add_f64_e32 v[0:1], v[4:5], v[0:1]
	scratch_load_b64 v[4:5], off, off offset:96 th:TH_LOAD_LU ; 8-byte Folded Reload
	s_wait_loadcnt 0x1
	v_fma_f64 v[6:7], v[66:67], s[14:15], v[6:7]
	v_add_f64_e32 v[2:3], v[6:7], v[2:3]
	scratch_load_b64 v[6:7], off, off offset:120 th:TH_LOAD_LU ; 8-byte Folded Reload
	s_wait_loadcnt 0x1
	v_fma_f64 v[4:5], v[64:65], s[28:29], -v[4:5]
	s_delay_alu instid0(VALU_DEP_1) | instskip(SKIP_3) | instid1(VALU_DEP_1)
	v_add_f64_e32 v[0:1], v[4:5], v[0:1]
	scratch_load_b64 v[4:5], off, off offset:112 th:TH_LOAD_LU ; 8-byte Folded Reload
	s_wait_loadcnt 0x1
	v_fma_f64 v[6:7], v[62:63], s[12:13], v[6:7]
	v_add_f64_e32 v[2:3], v[6:7], v[2:3]
	v_fma_f64 v[6:7], v[58:59], s[10:11], v[118:119]
	s_delay_alu instid0(VALU_DEP_1) | instskip(SKIP_1) | instid1(VALU_DEP_1)
	v_add_f64_e32 v[2:3], v[6:7], v[2:3]
	v_fma_f64 v[6:7], v[54:55], s[4:5], v[112:113]
	v_add_f64_e32 v[2:3], v[6:7], v[2:3]
	v_fma_f64 v[6:7], v[50:51], s[0:1], v[116:117]
	s_delay_alu instid0(VALU_DEP_1) | instskip(SKIP_2) | instid1(VALU_DEP_1)
	v_add_f64_e32 v[50:51], v[6:7], v[2:3]
	s_wait_loadcnt 0x0
	v_fma_f64 v[4:5], v[60:61], s[26:27], -v[4:5]
	v_add_f64_e32 v[0:1], v[4:5], v[0:1]
	scratch_load_b64 v[4:5], off, off offset:128 th:TH_LOAD_LU ; 8-byte Folded Reload
	global_wb scope:SCOPE_SE
	s_wait_loadcnt 0x0
	s_wait_storecnt 0x0
	s_barrier_signal -1
	s_barrier_wait -1
	global_inv scope:SCOPE_SE
	v_fma_f64 v[4:5], v[56:57], s[24:25], -v[4:5]
	s_delay_alu instid0(VALU_DEP_1) | instskip(SKIP_1) | instid1(VALU_DEP_1)
	v_add_f64_e32 v[0:1], v[4:5], v[0:1]
	v_fma_f64 v[4:5], v[52:53], s[22:23], -v[150:151]
	v_add_f64_e32 v[0:1], v[4:5], v[0:1]
	v_fma_f64 v[4:5], v[48:49], s[20:21], -v[114:115]
	s_delay_alu instid0(VALU_DEP_1)
	v_add_f64_e32 v[48:49], v[4:5], v[0:1]
	scratch_load_b128 v[1:4], off, off th:TH_LOAD_LU ; 16-byte Folded Reload
	v_mad_u32_u24 v0, 0x110, v230, 0
	s_wait_loadcnt 0x0
	ds_store_b128 v0, v[1:4]
	scratch_load_b128 v[1:4], off, off offset:16 th:TH_LOAD_LU ; 16-byte Folded Reload
	s_wait_loadcnt 0x0
	ds_store_b128 v0, v[1:4] offset:16
	ds_store_b128 v0, v[108:111] offset:32
	;; [unrolled: 1-line block ×7, first 2 shown]
	v_and_b32_e32 v1, 0xff, v230
	ds_store_b128 v0, v[40:43] offset:128
	ds_store_b128 v0, v[44:47] offset:144
	;; [unrolled: 1-line block ×9, first 2 shown]
	global_wb scope:SCOPE_SE
	s_wait_dscnt 0x0
	s_barrier_signal -1
	v_mul_lo_u16 v1, 0xf1, v1
	s_barrier_wait -1
	global_inv scope:SCOPE_SE
	v_lshrrev_b16 v231, 12, v1
	s_delay_alu instid0(VALU_DEP_1) | instskip(NEXT) | instid1(VALU_DEP_1)
	v_mul_lo_u16 v1, v231, 17
	v_sub_nc_u16 v1, v230, v1
	s_delay_alu instid0(VALU_DEP_1) | instskip(NEXT) | instid1(VALU_DEP_1)
	v_and_b32_e32 v121, 0xff, v1
	v_lshlrev_b32_e32 v16, 8, v121
	s_clause 0x3
	global_load_b128 v[12:15], v16, s[8:9]
	global_load_b128 v[8:11], v16, s[8:9] offset:16
	global_load_b128 v[4:7], v16, s[8:9] offset:32
	;; [unrolled: 1-line block ×3, first 2 shown]
	ds_load_b128 v[17:20], v120 offset:1632
	ds_load_b128 v[21:24], v120
	ds_load_b128 v[25:28], v120 offset:3264
	ds_load_b128 v[29:32], v120 offset:4896
	s_wait_loadcnt_dscnt 0x303
	v_mul_f64_e32 v[33:34], v[19:20], v[14:15]
	v_mul_f64_e32 v[14:15], v[17:18], v[14:15]
	s_wait_loadcnt_dscnt 0x201
	v_mul_f64_e32 v[35:36], v[27:28], v[10:11]
	v_mul_f64_e32 v[10:11], v[25:26], v[10:11]
	s_wait_loadcnt_dscnt 0x100
	v_mul_f64_e32 v[39:40], v[29:30], v[6:7]
	v_fma_f64 v[33:34], v[17:18], v[12:13], v[33:34]
	v_fma_f64 v[37:38], v[19:20], v[12:13], -v[14:15]
	v_mul_f64_e32 v[14:15], v[31:32], v[6:7]
	v_fma_f64 v[43:44], v[27:28], v[8:9], -v[10:11]
	ds_load_b128 v[10:13], v120 offset:6528
	v_fma_f64 v[18:19], v[25:26], v[8:9], v[35:36]
	ds_load_b128 v[25:28], v120 offset:8160
	global_load_b128 v[6:9], v16, s[8:9] offset:64
	v_fma_f64 v[47:48], v[31:32], v[4:5], -v[39:40]
	v_fma_f64 v[45:46], v[29:30], v[4:5], v[14:15]
	s_wait_loadcnt_dscnt 0x101
	v_mul_f64_e32 v[4:5], v[12:13], v[2:3]
	v_mul_f64_e32 v[2:3], v[10:11], v[2:3]
	s_delay_alu instid0(VALU_DEP_2) | instskip(NEXT) | instid1(VALU_DEP_2)
	v_fma_f64 v[49:50], v[10:11], v[0:1], v[4:5]
	v_fma_f64 v[51:52], v[12:13], v[0:1], -v[2:3]
	global_load_b128 v[0:3], v16, s[8:9] offset:80
	s_wait_loadcnt_dscnt 0x100
	v_mul_f64_e32 v[4:5], v[27:28], v[8:9]
	v_mul_f64_e32 v[8:9], v[25:26], v[8:9]
	s_delay_alu instid0(VALU_DEP_2) | instskip(NEXT) | instid1(VALU_DEP_2)
	v_fma_f64 v[53:54], v[25:26], v[6:7], v[4:5]
	v_fma_f64 v[55:56], v[27:28], v[6:7], -v[8:9]
	ds_load_b128 v[4:7], v120 offset:9792
	ds_load_b128 v[8:11], v120 offset:11424
	s_wait_loadcnt_dscnt 0x1
	v_mul_f64_e32 v[12:13], v[6:7], v[2:3]
	v_mul_f64_e32 v[2:3], v[4:5], v[2:3]
	s_delay_alu instid0(VALU_DEP_2) | instskip(NEXT) | instid1(VALU_DEP_2)
	v_fma_f64 v[57:58], v[4:5], v[0:1], v[12:13]
	v_fma_f64 v[59:60], v[6:7], v[0:1], -v[2:3]
	s_clause 0x1
	global_load_b128 v[0:3], v16, s[8:9] offset:96
	global_load_b128 v[4:7], v16, s[8:9] offset:112
	s_wait_loadcnt_dscnt 0x100
	v_mul_f64_e32 v[12:13], v[10:11], v[2:3]
	v_mul_f64_e32 v[2:3], v[8:9], v[2:3]
	s_delay_alu instid0(VALU_DEP_2) | instskip(NEXT) | instid1(VALU_DEP_2)
	v_fma_f64 v[61:62], v[8:9], v[0:1], v[12:13]
	v_fma_f64 v[63:64], v[10:11], v[0:1], -v[2:3]
	ds_load_b128 v[0:3], v120 offset:13056
	ds_load_b128 v[8:11], v120 offset:14688
	s_wait_loadcnt_dscnt 0x1
	v_mul_f64_e32 v[12:13], v[2:3], v[6:7]
	s_delay_alu instid0(VALU_DEP_1) | instskip(SKIP_1) | instid1(VALU_DEP_1)
	v_fma_f64 v[65:66], v[0:1], v[4:5], v[12:13]
	v_mul_f64_e32 v[0:1], v[0:1], v[6:7]
	v_fma_f64 v[67:68], v[2:3], v[4:5], -v[0:1]
	s_clause 0x1
	global_load_b128 v[0:3], v16, s[8:9] offset:128
	global_load_b128 v[4:7], v16, s[8:9] offset:144
	s_wait_loadcnt_dscnt 0x100
	v_mul_f64_e32 v[12:13], v[10:11], v[2:3]
	v_mul_f64_e32 v[2:3], v[8:9], v[2:3]
	s_delay_alu instid0(VALU_DEP_2) | instskip(NEXT) | instid1(VALU_DEP_2)
	v_fma_f64 v[69:70], v[8:9], v[0:1], v[12:13]
	v_fma_f64 v[78:79], v[10:11], v[0:1], -v[2:3]
	ds_load_b128 v[0:3], v120 offset:16320
	ds_load_b128 v[8:11], v120 offset:17952
	s_wait_loadcnt_dscnt 0x1
	v_mul_f64_e32 v[12:13], v[2:3], v[6:7]
	s_delay_alu instid0(VALU_DEP_1) | instskip(SKIP_1) | instid1(VALU_DEP_2)
	v_fma_f64 v[80:81], v[0:1], v[4:5], v[12:13]
	v_mul_f64_e32 v[0:1], v[0:1], v[6:7]
	v_add_f64_e32 v[182:183], v[61:62], v[80:81]
	s_delay_alu instid0(VALU_DEP_2)
	v_fma_f64 v[106:107], v[2:3], v[4:5], -v[0:1]
	s_clause 0x1
	global_load_b128 v[0:3], v16, s[8:9] offset:160
	global_load_b128 v[4:7], v16, s[8:9] offset:176
	v_add_f64_e64 v[186:187], v[61:62], -v[80:81]
	s_wait_loadcnt_dscnt 0x100
	v_mul_f64_e32 v[12:13], v[10:11], v[2:3]
	v_mul_f64_e32 v[2:3], v[8:9], v[2:3]
	s_delay_alu instid0(VALU_DEP_2) | instskip(NEXT) | instid1(VALU_DEP_2)
	v_fma_f64 v[144:145], v[8:9], v[0:1], v[12:13]
	v_fma_f64 v[152:153], v[10:11], v[0:1], -v[2:3]
	ds_load_b128 v[0:3], v120 offset:19584
	ds_load_b128 v[8:11], v120 offset:21216
	s_wait_loadcnt_dscnt 0x1
	v_mul_f64_e32 v[12:13], v[2:3], v[6:7]
	v_add_f64_e32 v[158:159], v[57:58], v[144:145]
	v_add_f64_e64 v[234:235], v[59:60], -v[152:153]
	v_add_f64_e32 v[236:237], v[59:60], v[152:153]
	v_add_f64_e64 v[166:167], v[57:58], -v[144:145]
	v_fma_f64 v[88:89], v[0:1], v[4:5], v[12:13]
	v_mul_f64_e32 v[0:1], v[0:1], v[6:7]
	global_load_b128 v[12:15], v16, s[8:9] offset:224
	v_mul_f64_e32 v[160:161], s[10:11], v[234:235]
	v_mul_f64_e32 v[168:169], s[24:25], v[236:237]
	;; [unrolled: 1-line block ×5, first 2 shown]
	v_fma_f64 v[90:91], v[2:3], v[4:5], -v[0:1]
	global_load_b128 v[0:3], v16, s[8:9] offset:240
	ds_load_b128 v[4:7], v120 offset:26112
	v_add_f64_e64 v[202:203], v[55:56], -v[90:91]
	v_add_f64_e32 v[204:205], v[55:56], v[90:91]
	s_delay_alu instid0(VALU_DEP_2) | instskip(NEXT) | instid1(VALU_DEP_2)
	v_mul_f64_e32 v[84:85], s[12:13], v[202:203]
	v_mul_f64_e32 v[82:83], s[26:27], v[204:205]
	;; [unrolled: 1-line block ×5, first 2 shown]
	s_wait_loadcnt_dscnt 0x0
	v_mul_f64_e32 v[25:26], v[4:5], v[2:3]
	v_mul_f64_e32 v[2:3], v[6:7], v[2:3]
	s_delay_alu instid0(VALU_DEP_2) | instskip(NEXT) | instid1(VALU_DEP_2)
	v_fma_f64 v[86:87], v[6:7], v[0:1], -v[25:26]
	v_fma_f64 v[92:93], v[4:5], v[0:1], v[2:3]
	s_clause 0x1
	global_load_b128 v[0:3], v16, s[8:9] offset:192
	global_load_b128 v[4:7], v16, s[8:9] offset:208
	v_add_f64_e64 v[122:123], v[33:34], -v[92:93]
	s_wait_loadcnt 0x1
	v_mul_f64_e32 v[16:17], v[10:11], v[2:3]
	v_mul_f64_e32 v[2:3], v[8:9], v[2:3]
	s_delay_alu instid0(VALU_DEP_2) | instskip(NEXT) | instid1(VALU_DEP_2)
	v_fma_f64 v[94:95], v[8:9], v[0:1], v[16:17]
	v_fma_f64 v[96:97], v[10:11], v[0:1], -v[2:3]
	ds_load_b128 v[0:3], v120 offset:22848
	ds_load_b128 v[8:11], v120 offset:24480
	s_wait_loadcnt_dscnt 0x1
	v_mul_f64_e32 v[16:17], v[2:3], v[6:7]
	v_add_f64_e64 v[190:191], v[51:52], -v[96:97]
	v_add_f64_e32 v[192:193], v[51:52], v[96:97]
	s_delay_alu instid0(VALU_DEP_3) | instskip(SKIP_4) | instid1(VALU_DEP_4)
	v_fma_f64 v[98:99], v[0:1], v[4:5], v[16:17]
	v_mul_f64_e32 v[0:1], v[0:1], v[6:7]
	v_add_f64_e32 v[16:17], v[33:34], v[92:93]
	v_mul_f64_e32 v[246:247], s[44:45], v[190:191]
	v_mul_f64_e32 v[248:249], s[26:27], v[192:193]
	v_fma_f64 v[100:101], v[2:3], v[4:5], -v[0:1]
	s_wait_dscnt 0x0
	v_mul_f64_e32 v[0:1], v[10:11], v[14:15]
	s_delay_alu instid0(VALU_DEP_2) | instskip(NEXT) | instid1(VALU_DEP_2)
	v_add_f64_e64 v[174:175], v[47:48], -v[100:101]
	v_fma_f64 v[102:103], v[8:9], v[12:13], v[0:1]
	v_mul_f64_e32 v[0:1], v[8:9], v[14:15]
	v_add_f64_e32 v[176:177], v[47:48], v[100:101]
	s_delay_alu instid0(VALU_DEP_4) | instskip(NEXT) | instid1(VALU_DEP_3)
	v_mul_f64_e32 v[242:243], s[50:51], v[174:175]
	v_fma_f64 v[104:105], v[10:11], v[12:13], -v[0:1]
	v_add_f64_e64 v[0:1], v[37:38], -v[86:87]
	s_delay_alu instid0(VALU_DEP_4) | instskip(NEXT) | instid1(VALU_DEP_3)
	v_mul_f64_e32 v[244:245], s[20:21], v[176:177]
	v_add_f64_e64 v[154:155], v[43:44], -v[104:105]
	s_delay_alu instid0(VALU_DEP_3)
	v_mul_f64_e32 v[8:9], s[14:15], v[0:1]
	v_mul_f64_e32 v[2:3], s[38:39], v[0:1]
	;; [unrolled: 1-line block ×8, first 2 shown]
	v_add_f64_e32 v[156:157], v[43:44], v[104:105]
	v_mul_f64_e32 v[238:239], s[10:11], v[154:155]
	v_fma_f64 v[35:36], v[16:17], s[28:29], v[8:9]
	v_fma_f64 v[39:40], v[16:17], s[28:29], -v[8:9]
	v_add_f64_e32 v[8:9], v[37:38], v[86:87]
	v_fma_f64 v[25:26], v[16:17], s[36:37], v[2:3]
	v_fma_f64 v[2:3], v[16:17], s[36:37], -v[2:3]
	v_fma_f64 v[27:28], v[16:17], s[34:35], v[4:5]
	v_fma_f64 v[4:5], v[16:17], s[34:35], -v[4:5]
	;; [unrolled: 2-line block ×7, first 2 shown]
	v_mul_f64_e32 v[240:241], s[24:25], v[156:157]
	v_mul_f64_e32 v[10:11], s[36:37], v[8:9]
	;; [unrolled: 1-line block ×9, first 2 shown]
	v_add_f64_e32 v[2:3], v[21:22], v[2:3]
	v_add_f64_e32 v[25:26], v[21:22], v[25:26]
	;; [unrolled: 1-line block ×3, first 2 shown]
	v_mul_f64_e32 v[12:13], s[16:17], v[174:175]
	v_add_f64_e32 v[210:211], v[21:22], v[108:109]
	v_add_f64_e32 v[0:1], v[21:22], v[0:1]
	v_fma_f64 v[124:125], v[122:123], s[40:41], v[10:11]
	v_fma_f64 v[10:11], v[122:123], s[38:39], v[10:11]
	v_fma_f64 v[126:127], v[122:123], s[48:49], v[16:17]
	v_fma_f64 v[16:17], v[122:123], s[18:19], v[16:17]
	v_fma_f64 v[128:129], v[122:123], s[42:43], v[31:32]
	v_fma_f64 v[130:131], v[122:123], s[16:17], v[31:32]
	v_fma_f64 v[132:133], v[122:123], s[54:55], v[110:111]
	v_fma_f64 v[110:111], v[122:123], s[14:15], v[110:111]
	v_fma_f64 v[134:135], v[122:123], s[44:45], v[112:113]
	v_fma_f64 v[136:137], v[122:123], s[12:13], v[112:113]
	v_fma_f64 v[138:139], v[122:123], s[52:53], v[116:117]
	v_fma_f64 v[116:117], v[122:123], s[10:11], v[116:117]
	v_fma_f64 v[140:141], v[122:123], s[46:47], v[118:119]
	v_fma_f64 v[118:119], v[122:123], s[4:5], v[118:119]
	v_fma_f64 v[142:143], v[122:123], s[50:51], v[8:9]
	v_fma_f64 v[122:123], v[122:123], s[0:1], v[8:9]
	v_add_f64_e32 v[8:9], v[21:22], v[33:34]
	scratch_store_b64 off, v[2:3], off      ; 8-byte Folded Spill
	v_add_f64_e32 v[34:35], v[21:22], v[35:36]
	v_add_f64_e32 v[30:31], v[21:22], v[29:30]
	;; [unrolled: 1-line block ×3, first 2 shown]
	scratch_store_b64 off, v[0:1], off offset:200 ; 8-byte Folded Spill
	v_add_f64_e32 v[124:125], v[23:24], v[124:125]
	v_add_f64_e32 v[2:3], v[23:24], v[10:11]
	;; [unrolled: 1-line block ×5, first 2 shown]
	v_dual_mov_b32 v133, v68 :: v_dual_mov_b32 v132, v67
	v_add_f64_e32 v[216:217], v[23:24], v[136:137]
	v_add_f64_e32 v[128:129], v[23:24], v[138:139]
	;; [unrolled: 1-line block ×4, first 2 shown]
	v_dual_mov_b32 v117, v66 :: v_dual_mov_b32 v116, v65
	v_add_f64_e32 v[0:1], v[23:24], v[122:123]
	scratch_store_b64 off, v[8:9], off offset:32 ; 8-byte Folded Spill
	v_add_f64_e32 v[8:9], v[23:24], v[37:38]
	v_add_f64_e32 v[122:123], v[45:46], v[98:99]
	;; [unrolled: 1-line block ×3, first 2 shown]
	v_add_f64_e64 v[134:135], v[49:50], -v[94:95]
	v_add_f64_e32 v[194:195], v[116:117], v[69:70]
	v_add_f64_e64 v[198:199], v[116:117], -v[69:70]
	v_mul_f64_e32 v[66:67], s[20:21], v[192:193]
	v_add_f64_e32 v[208:209], v[23:24], v[140:141]
	scratch_store_b64 off, v[2:3], off offset:16 ; 8-byte Folded Spill
	v_add_f64_e32 v[2:3], v[21:22], v[4:5]
	v_mul_f64_e32 v[4:5], s[30:31], v[176:177]
	scratch_store_b64 off, v[8:9], off offset:40 ; 8-byte Folded Spill
	v_add_f64_e32 v[8:9], v[23:24], v[126:127]
	v_add_f64_e64 v[126:127], v[45:46], -v[98:99]
	scratch_store_b64 off, v[2:3], off offset:72 ; 8-byte Folded Spill
	v_add_f64_e32 v[2:3], v[23:24], v[16:17]
	scratch_store_b64 off, v[2:3], off offset:64 ; 8-byte Folded Spill
	v_add_f64_e32 v[2:3], v[21:22], v[6:7]
	v_add_f64_e32 v[6:7], v[63:64], v[106:107]
	scratch_store_b64 off, v[2:3], off offset:104 ; 8-byte Folded Spill
	v_add_f64_e32 v[2:3], v[23:24], v[130:131]
	v_add_f64_e32 v[130:131], v[49:50], v[94:95]
	v_mul_f64_e32 v[188:189], s[22:23], v[6:7]
	v_mul_f64_e32 v[140:141], s[30:31], v[6:7]
	scratch_store_b64 off, v[2:3], off offset:96 ; 8-byte Folded Spill
	v_add_f64_e32 v[2:3], v[21:22], v[39:40]
	v_fma_f64 v[16:17], v[186:187], s[46:47], v[188:189]
	v_add_f64_e32 v[38:39], v[21:22], v[41:42]
	scratch_store_b64 off, v[2:3], off offset:152 ; 8-byte Folded Spill
	v_add_f64_e32 v[2:3], v[23:24], v[110:111]
	scratch_store_b64 off, v[2:3], off offset:144 ; 8-byte Folded Spill
	;; [unrolled: 2-line block ×4, first 2 shown]
	v_add_f64_e32 v[2:3], v[23:24], v[118:119]
	v_add_f64_e64 v[118:119], v[18:19], -v[102:103]
	scratch_store_b64 off, v[2:3], off offset:240 ; 8-byte Folded Spill
	v_add_f64_e32 v[2:3], v[21:22], v[114:115]
	v_add_f64_e32 v[114:115], v[18:19], v[102:103]
	v_mul_f64_e32 v[20:21], s[16:17], v[202:203]
	scratch_store_b64 off, v[2:3], off offset:232 ; 8-byte Folded Spill
	v_add_f64_e32 v[2:3], v[23:24], v[142:143]
	v_add_f64_e64 v[142:143], v[53:54], -v[88:89]
	s_clause 0x2
	scratch_store_b64 off, v[2:3], off offset:224
	scratch_store_b64 off, v[0:1], off offset:192
	;; [unrolled: 1-line block ×3, first 2 shown]
	v_mul_f64_e32 v[0:1], s[18:19], v[154:155]
	v_mul_f64_e32 v[2:3], s[34:35], v[156:157]
	scratch_store_b64 off, v[12:13], off offset:112 ; 8-byte Folded Spill
	v_fma_f64 v[12:13], v[122:123], s[30:31], v[12:13]
	s_clause 0x5
	scratch_store_b64 off, v[47:48], off offset:128
	scratch_store_b64 off, v[4:5], off offset:120
	;; [unrolled: 1-line block ×6, first 2 shown]
	v_mul_f64_e32 v[48:49], s[22:23], v[236:237]
	s_clause 0x1
	scratch_store_b64 off, v[0:1], off offset:48
	scratch_store_b64 off, v[2:3], off offset:56
	v_fma_f64 v[0:1], v[114:115], s[34:35], v[0:1]
	scratch_store_b64 off, v[18:19], off offset:88 ; 8-byte Folded Spill
	v_fma_f64 v[2:3], v[118:119], s[48:49], v[2:3]
	v_add_f64_e64 v[18:19], v[63:64], -v[106:107]
	v_add_f64_e32 v[0:1], v[0:1], v[25:26]
	v_mul_f64_e32 v[24:25], s[36:37], v[192:193]
	s_delay_alu instid0(VALU_DEP_4) | instskip(NEXT) | instid1(VALU_DEP_4)
	v_add_f64_e32 v[2:3], v[2:3], v[124:125]
	v_mul_f64_e32 v[184:185], s[4:5], v[18:19]
	v_mul_f64_e32 v[136:137], s[42:43], v[18:19]
	;; [unrolled: 1-line block ×3, first 2 shown]
	v_add_f64_e32 v[0:1], v[12:13], v[0:1]
	v_fma_f64 v[12:13], v[126:127], s[42:43], v[4:5]
	v_mul_f64_e32 v[4:5], s[28:29], v[192:193]
	scratch_store_b64 off, v[51:52], off offset:176 ; 8-byte Folded Spill
	v_mul_f64_e32 v[50:51], s[24:25], v[6:7]
	v_add_f64_e32 v[2:3], v[12:13], v[2:3]
	v_mul_f64_e32 v[12:13], s[14:15], v[190:191]
	s_clause 0x1
	scratch_store_b64 off, v[45:46], off offset:136
	scratch_store_b64 off, v[4:5], off offset:168
	v_mul_f64_e32 v[46:47], s[52:53], v[18:19]
	scratch_store_b64 off, v[12:13], off offset:160 ; 8-byte Folded Spill
	v_fma_f64 v[12:13], v[130:131], s[28:29], v[12:13]
	s_clause 0x1
	scratch_store_b64 off, v[57:58], off offset:272
	scratch_store_b64 off, v[144:145], off offset:256
	v_mul_f64_e32 v[144:145], s[14:15], v[154:155]
	s_clause 0x3
	scratch_store_b64 off, v[63:64], off offset:304
	scratch_store_b64 off, v[106:107], off offset:280
	;; [unrolled: 1-line block ×4, first 2 shown]
	v_mul_f64_e32 v[80:81], s[28:29], v[156:157]
	s_clause 0x1
	scratch_store_b64 off, v[78:79], off offset:320
	scratch_store_b64 off, v[69:70], off offset:328
	v_mul_f64_e32 v[70:71], s[24:25], v[176:177]
	v_mul_f64_e32 v[68:69], s[0:1], v[190:191]
	v_mul_f64_e32 v[64:65], s[46:47], v[202:203]
	v_mul_f64_e32 v[58:59], s[36:37], v[236:237]
	v_mul_f64_e32 v[56:57], s[14:15], v[18:19]
	v_mul_f64_e32 v[60:61], s[28:29], v[6:7]
	v_add_f64_e32 v[0:1], v[12:13], v[0:1]
	v_fma_f64 v[12:13], v[134:135], s[54:55], v[4:5]
	v_add_f64_e64 v[4:5], v[132:133], -v[78:79]
	s_delay_alu instid0(VALU_DEP_2) | instskip(SKIP_1) | instid1(VALU_DEP_3)
	v_add_f64_e32 v[2:3], v[12:13], v[2:3]
	v_fma_f64 v[12:13], v[138:139], s[26:27], v[84:85]
	v_mul_f64_e32 v[196:197], s[0:1], v[4:5]
	v_mul_f64_e32 v[206:207], s[40:41], v[4:5]
	;; [unrolled: 1-line block ×4, first 2 shown]
	v_add_f64_e32 v[0:1], v[12:13], v[0:1]
	v_fma_f64 v[12:13], v[142:143], s[44:45], v[82:83]
	s_delay_alu instid0(VALU_DEP_1) | instskip(SKIP_1) | instid1(VALU_DEP_1)
	v_add_f64_e32 v[2:3], v[12:13], v[2:3]
	v_fma_f64 v[12:13], v[158:159], s[24:25], v[160:161]
	v_add_f64_e32 v[12:13], v[12:13], v[0:1]
	v_fma_f64 v[0:1], v[166:167], s[52:53], v[168:169]
	s_delay_alu instid0(VALU_DEP_1) | instskip(SKIP_2) | instid1(VALU_DEP_3)
	v_add_f64_e32 v[14:15], v[0:1], v[2:3]
	v_fma_f64 v[2:3], v[182:183], s[22:23], v[184:185]
	v_mul_f64_e32 v[0:1], s[10:11], v[4:5]
	v_add_f64_e32 v[14:15], v[16:17], v[14:15]
	s_delay_alu instid0(VALU_DEP_3) | instskip(SKIP_3) | instid1(VALU_DEP_3)
	v_add_f64_e32 v[12:13], v[2:3], v[12:13]
	v_add_f64_e32 v[2:3], v[132:133], v[78:79]
	v_fma_f64 v[16:17], v[194:195], s[20:21], v[196:197]
	v_mul_f64_e32 v[78:79], s[10:11], v[174:175]
	v_mul_f64_e32 v[200:201], s[20:21], v[2:3]
	s_delay_alu instid0(VALU_DEP_3)
	v_add_f64_e32 v[74:75], v[16:17], v[12:13]
	v_mul_f64_e32 v[62:63], s[36:37], v[2:3]
	v_mul_f64_e32 v[52:53], s[22:23], v[2:3]
	;; [unrolled: 1-line block ×4, first 2 shown]
	v_fma_f64 v[12:13], v[198:199], s[50:51], v[200:201]
	s_delay_alu instid0(VALU_DEP_4) | instskip(NEXT) | instid1(VALU_DEP_2)
	v_fma_f64 v[146:147], v[198:199], s[46:47], v[52:53]
	v_add_f64_e32 v[76:77], v[12:13], v[14:15]
	v_fma_f64 v[12:13], v[114:115], s[28:29], v[144:145]
	v_mul_f64_e32 v[14:15], s[40:41], v[190:191]
	s_delay_alu instid0(VALU_DEP_2) | instskip(SKIP_1) | instid1(VALU_DEP_1)
	v_add_f64_e32 v[10:11], v[12:13], v[10:11]
	v_fma_f64 v[12:13], v[118:119], s[54:55], v[80:81]
	v_add_f64_e32 v[8:9], v[12:13], v[8:9]
	v_fma_f64 v[12:13], v[122:123], s[24:25], v[78:79]
	s_delay_alu instid0(VALU_DEP_1) | instskip(SKIP_1) | instid1(VALU_DEP_1)
	v_add_f64_e32 v[10:11], v[12:13], v[10:11]
	v_fma_f64 v[12:13], v[126:127], s[52:53], v[70:71]
	v_add_f64_e32 v[8:9], v[12:13], v[8:9]
	v_fma_f64 v[12:13], v[130:131], s[20:21], v[68:69]
	s_delay_alu instid0(VALU_DEP_1) | instskip(SKIP_1) | instid1(VALU_DEP_1)
	;; [unrolled: 5-line block ×5, first 2 shown]
	v_add_f64_e32 v[10:11], v[12:13], v[10:11]
	v_fma_f64 v[12:13], v[186:187], s[16:17], v[140:141]
	v_add_f64_e32 v[8:9], v[12:13], v[8:9]
	v_fma_f64 v[12:13], v[194:195], s[36:37], v[206:207]
	s_delay_alu instid0(VALU_DEP_1) | instskip(SKIP_2) | instid1(VALU_DEP_2)
	v_add_f64_e32 v[226:227], v[12:13], v[10:11]
	v_fma_f64 v[10:11], v[198:199], s[38:39], v[62:63]
	v_fma_f64 v[12:13], v[122:123], s[20:21], v[242:243]
	v_add_f64_e32 v[228:229], v[10:11], v[8:9]
	v_fma_f64 v[8:9], v[114:115], s[24:25], v[238:239]
	v_fma_f64 v[10:11], v[118:119], s[52:53], v[240:241]
	s_delay_alu instid0(VALU_DEP_2) | instskip(NEXT) | instid1(VALU_DEP_2)
	v_add_f64_e32 v[8:9], v[8:9], v[30:31]
	v_add_f64_e32 v[10:11], v[10:11], v[28:29]
	v_fma_f64 v[28:29], v[186:187], s[54:55], v[60:61]
	s_delay_alu instid0(VALU_DEP_3) | instskip(SKIP_1) | instid1(VALU_DEP_1)
	v_add_f64_e32 v[8:9], v[12:13], v[8:9]
	v_fma_f64 v[12:13], v[126:127], s[0:1], v[244:245]
	v_add_f64_e32 v[10:11], v[12:13], v[10:11]
	v_fma_f64 v[12:13], v[130:131], s[26:27], v[246:247]
	s_delay_alu instid0(VALU_DEP_1) | instskip(SKIP_1) | instid1(VALU_DEP_1)
	v_add_f64_e32 v[8:9], v[12:13], v[8:9]
	v_fma_f64 v[12:13], v[134:135], s[12:13], v[248:249]
	v_add_f64_e32 v[10:11], v[12:13], v[10:11]
	v_fma_f64 v[12:13], v[138:139], s[34:35], v[250:251]
	s_delay_alu instid0(VALU_DEP_1) | instskip(SKIP_1) | instid1(VALU_DEP_1)
	;; [unrolled: 5-line block ×3, first 2 shown]
	v_add_f64_e32 v[8:9], v[12:13], v[8:9]
	v_fma_f64 v[12:13], v[166:167], s[40:41], v[58:59]
	v_add_f64_e32 v[10:11], v[12:13], v[10:11]
	v_fma_f64 v[12:13], v[182:183], s[28:29], v[56:57]
	s_delay_alu instid0(VALU_DEP_2) | instskip(NEXT) | instid1(VALU_DEP_2)
	v_add_f64_e32 v[30:31], v[28:29], v[10:11]
	v_add_f64_e32 v[8:9], v[12:13], v[8:9]
	v_fma_f64 v[28:29], v[194:195], s[22:23], v[54:55]
	v_mul_f64_e32 v[12:13], s[20:21], v[156:157]
	v_mul_f64_e32 v[10:11], s[44:45], v[174:175]
	v_add_f64_e32 v[108:109], v[146:147], v[30:31]
	v_fma_f64 v[30:31], v[166:167], s[46:47], v[48:49]
	v_add_f64_e32 v[106:107], v[28:29], v[8:9]
	v_mul_f64_e32 v[8:9], s[0:1], v[154:155]
	v_fma_f64 v[22:23], v[118:119], s[50:51], v[12:13]
	v_mul_f64_e32 v[28:29], s[30:31], v[204:205]
	s_delay_alu instid0(VALU_DEP_3) | instskip(NEXT) | instid1(VALU_DEP_3)
	v_fma_f64 v[146:147], v[114:115], s[20:21], v[8:9]
	v_add_f64_e32 v[22:23], v[22:23], v[32:33]
	v_fma_f64 v[32:33], v[122:123], s[26:27], v[10:11]
	s_delay_alu instid0(VALU_DEP_3) | instskip(NEXT) | instid1(VALU_DEP_1)
	v_add_f64_e32 v[34:35], v[146:147], v[34:35]
	v_add_f64_e32 v[32:33], v[32:33], v[34:35]
	v_fma_f64 v[34:35], v[126:127], s[12:13], v[16:17]
	s_delay_alu instid0(VALU_DEP_1) | instskip(SKIP_1) | instid1(VALU_DEP_1)
	v_add_f64_e32 v[22:23], v[34:35], v[22:23]
	v_fma_f64 v[34:35], v[130:131], s[36:37], v[14:15]
	v_add_f64_e32 v[32:33], v[34:35], v[32:33]
	v_fma_f64 v[34:35], v[134:135], s[38:39], v[24:25]
	s_delay_alu instid0(VALU_DEP_1) | instskip(SKIP_1) | instid1(VALU_DEP_1)
	v_add_f64_e32 v[22:23], v[34:35], v[22:23]
	v_fma_f64 v[34:35], v[138:139], s[30:31], v[20:21]
	v_add_f64_e32 v[32:33], v[34:35], v[32:33]
	v_fma_f64 v[34:35], v[142:143], s[42:43], v[28:29]
	s_delay_alu instid0(VALU_DEP_1) | instskip(SKIP_1) | instid1(VALU_DEP_2)
	v_add_f64_e32 v[22:23], v[34:35], v[22:23]
	v_fma_f64 v[34:35], v[158:159], s[22:23], v[26:27]
	v_add_f64_e32 v[22:23], v[30:31], v[22:23]
	s_delay_alu instid0(VALU_DEP_2) | instskip(SKIP_2) | instid1(VALU_DEP_2)
	v_add_f64_e32 v[32:33], v[34:35], v[32:33]
	v_fma_f64 v[34:35], v[182:183], s[24:25], v[46:47]
	v_mul_f64_e32 v[30:31], s[34:35], v[2:3]
	v_add_f64_e32 v[32:33], v[34:35], v[32:33]
	v_fma_f64 v[34:35], v[186:187], s[10:11], v[50:51]
	s_delay_alu instid0(VALU_DEP_1) | instskip(SKIP_1) | instid1(VALU_DEP_1)
	v_add_f64_e32 v[22:23], v[34:35], v[22:23]
	v_fma_f64 v[34:35], v[194:195], s[34:35], v[44:45]
	v_add_f64_e32 v[32:33], v[34:35], v[32:33]
	v_fma_f64 v[34:35], v[198:199], s[18:19], v[30:31]
	s_delay_alu instid0(VALU_DEP_1) | instskip(SKIP_1) | instid1(VALU_DEP_1)
	v_add_f64_e32 v[34:35], v[34:35], v[22:23]
	v_mul_f64_e32 v[22:23], s[46:47], v[154:155]
	v_fma_f64 v[146:147], v[114:115], s[22:23], v[22:23]
	v_fma_f64 v[22:23], v[114:115], s[22:23], -v[22:23]
	s_delay_alu instid0(VALU_DEP_2) | instskip(SKIP_1) | instid1(VALU_DEP_3)
	v_add_f64_e32 v[38:39], v[146:147], v[38:39]
	v_mul_f64_e32 v[146:147], s[22:23], v[156:157]
	v_add_f64_e32 v[22:23], v[22:23], v[112:113]
	s_delay_alu instid0(VALU_DEP_2) | instskip(NEXT) | instid1(VALU_DEP_1)
	v_fma_f64 v[148:149], v[118:119], s[4:5], v[146:147]
	v_add_f64_e32 v[36:37], v[148:149], v[36:37]
	v_mul_f64_e32 v[148:149], s[48:49], v[174:175]
	s_delay_alu instid0(VALU_DEP_1) | instskip(SKIP_2) | instid1(VALU_DEP_3)
	v_fma_f64 v[162:163], v[122:123], s[34:35], v[148:149]
	v_fma_f64 v[112:113], v[122:123], s[34:35], -v[148:149]
	v_mul_f64_e32 v[148:149], s[36:37], v[176:177]
	v_add_f64_e32 v[38:39], v[162:163], v[38:39]
	v_mul_f64_e32 v[162:163], s[34:35], v[176:177]
	s_delay_alu instid0(VALU_DEP_4) | instskip(NEXT) | instid1(VALU_DEP_2)
	v_add_f64_e32 v[22:23], v[112:113], v[22:23]
	v_fma_f64 v[164:165], v[126:127], s[18:19], v[162:163]
	v_fma_f64 v[112:113], v[126:127], s[48:49], v[162:163]
	v_mul_f64_e32 v[162:163], s[22:23], v[192:193]
	s_delay_alu instid0(VALU_DEP_3) | instskip(SKIP_1) | instid1(VALU_DEP_1)
	v_add_f64_e32 v[36:37], v[164:165], v[36:37]
	v_mul_f64_e32 v[164:165], s[16:17], v[190:191]
	v_fma_f64 v[170:171], v[130:131], s[30:31], v[164:165]
	s_delay_alu instid0(VALU_DEP_1) | instskip(SKIP_1) | instid1(VALU_DEP_1)
	v_add_f64_e32 v[38:39], v[170:171], v[38:39]
	v_mul_f64_e32 v[170:171], s[30:31], v[192:193]
	v_fma_f64 v[172:173], v[134:135], s[42:43], v[170:171]
	s_delay_alu instid0(VALU_DEP_1) | instskip(SKIP_1) | instid1(VALU_DEP_1)
	;; [unrolled: 4-line block ×5, first 2 shown]
	v_add_f64_e32 v[38:39], v[40:41], v[38:39]
	v_mul_f64_e32 v[40:41], s[28:29], v[236:237]
	v_fma_f64 v[42:43], v[166:167], s[14:15], v[40:41]
	v_fma_f64 v[40:41], v[166:167], s[54:55], v[40:41]
	s_delay_alu instid0(VALU_DEP_2) | instskip(SKIP_1) | instid1(VALU_DEP_1)
	v_add_f64_e32 v[36:37], v[42:43], v[36:37]
	v_mul_f64_e32 v[42:43], s[38:39], v[18:19]
	v_fma_f64 v[124:125], v[182:183], s[36:37], v[42:43]
	v_fma_f64 v[42:43], v[182:183], s[36:37], -v[42:43]
	s_delay_alu instid0(VALU_DEP_2) | instskip(SKIP_1) | instid1(VALU_DEP_1)
	v_add_f64_e32 v[38:39], v[124:125], v[38:39]
	v_mul_f64_e32 v[124:125], s[36:37], v[6:7]
	v_fma_f64 v[110:111], v[186:187], s[40:41], v[124:125]
	s_delay_alu instid0(VALU_DEP_1) | instskip(SKIP_2) | instid1(VALU_DEP_2)
	v_add_f64_e32 v[110:111], v[110:111], v[36:37]
	v_fma_f64 v[36:37], v[194:195], s[24:25], v[0:1]
	v_fma_f64 v[0:1], v[194:195], s[24:25], -v[0:1]
	v_add_f64_e32 v[36:37], v[36:37], v[38:39]
	v_fma_f64 v[38:39], v[198:199], s[52:53], v[150:151]
	s_delay_alu instid0(VALU_DEP_1) | instskip(SKIP_2) | instid1(VALU_DEP_2)
	v_add_f64_e32 v[38:39], v[38:39], v[110:111]
	v_fma_f64 v[110:111], v[118:119], s[46:47], v[146:147]
	v_mul_f64_e32 v[146:147], s[38:39], v[174:175]
	v_add_f64_e32 v[110:111], v[110:111], v[216:217]
	s_delay_alu instid0(VALU_DEP_1) | instskip(SKIP_2) | instid1(VALU_DEP_2)
	v_add_f64_e32 v[110:111], v[112:113], v[110:111]
	v_fma_f64 v[112:113], v[130:131], s[30:31], -v[164:165]
	v_mul_f64_e32 v[164:165], s[54:55], v[202:203]
	v_add_f64_e32 v[22:23], v[112:113], v[22:23]
	v_fma_f64 v[112:113], v[134:135], s[16:17], v[170:171]
	v_mul_f64_e32 v[170:171], s[28:29], v[204:205]
	s_delay_alu instid0(VALU_DEP_2) | instskip(SKIP_2) | instid1(VALU_DEP_2)
	v_add_f64_e32 v[110:111], v[112:113], v[110:111]
	v_fma_f64 v[112:113], v[138:139], s[20:21], -v[172:173]
	v_mul_f64_e32 v[172:173], s[18:19], v[234:235]
	v_add_f64_e32 v[22:23], v[112:113], v[22:23]
	v_fma_f64 v[112:113], v[142:143], s[0:1], v[178:179]
	v_mul_f64_e32 v[178:179], s[34:35], v[236:237]
	s_delay_alu instid0(VALU_DEP_2) | instskip(SKIP_2) | instid1(VALU_DEP_3)
	v_add_f64_e32 v[110:111], v[112:113], v[110:111]
	v_fma_f64 v[112:113], v[158:159], s[28:29], -v[180:181]
	v_mul_f64_e32 v[180:181], s[0:1], v[18:19]
	v_add_f64_e32 v[40:41], v[40:41], v[110:111]
	s_delay_alu instid0(VALU_DEP_3) | instskip(SKIP_2) | instid1(VALU_DEP_3)
	v_add_f64_e32 v[22:23], v[112:113], v[22:23]
	v_mul_f64_e32 v[110:111], s[20:21], v[6:7]
	v_mul_f64_e32 v[112:113], s[42:43], v[4:5]
	v_add_f64_e32 v[22:23], v[42:43], v[22:23]
	v_fma_f64 v[42:43], v[186:187], s[38:39], v[124:125]
	v_mul_f64_e32 v[124:125], s[26:27], v[156:157]
	s_delay_alu instid0(VALU_DEP_3) | instskip(NEXT) | instid1(VALU_DEP_3)
	v_add_f64_e32 v[216:217], v[0:1], v[22:23]
	v_add_f64_e32 v[40:41], v[42:43], v[40:41]
	v_fma_f64 v[42:43], v[198:199], s[10:11], v[150:151]
	v_mul_f64_e32 v[0:1], s[44:45], v[154:155]
	v_mul_f64_e32 v[150:151], s[4:5], v[190:191]
	s_delay_alu instid0(VALU_DEP_3) | instskip(SKIP_4) | instid1(VALU_DEP_1)
	v_add_f64_e32 v[218:219], v[42:43], v[40:41]
	scratch_load_b64 v[40:41], off, off offset:296 th:TH_LOAD_LU ; 8-byte Folded Reload
	v_fma_f64 v[22:23], v[114:115], s[26:27], v[0:1]
	v_fma_f64 v[42:43], v[122:123], s[36:37], v[146:147]
	v_fma_f64 v[0:1], v[114:115], s[26:27], -v[0:1]
	v_add_f64_e32 v[0:1], v[0:1], v[214:215]
	v_mul_f64_e32 v[214:215], s[12:13], v[4:5]
	v_mul_f64_e32 v[4:5], s[54:55], v[4:5]
	s_wait_loadcnt 0x0
	v_add_f64_e32 v[22:23], v[22:23], v[40:41]
	v_fma_f64 v[40:41], v[118:119], s[12:13], v[124:125]
	v_fma_f64 v[124:125], v[118:119], s[44:45], v[124:125]
	s_delay_alu instid0(VALU_DEP_3) | instskip(NEXT) | instid1(VALU_DEP_3)
	v_add_f64_e32 v[22:23], v[42:43], v[22:23]
	v_add_f64_e32 v[40:41], v[40:41], v[128:129]
	v_fma_f64 v[42:43], v[126:127], s[40:41], v[148:149]
	s_delay_alu instid0(VALU_DEP_4) | instskip(SKIP_2) | instid1(VALU_DEP_4)
	v_add_f64_e32 v[124:125], v[124:125], v[212:213]
	v_mul_f64_e32 v[212:213], s[34:35], v[6:7]
	v_mul_f64_e32 v[6:7], s[26:27], v[6:7]
	v_add_f64_e32 v[40:41], v[42:43], v[40:41]
	v_fma_f64 v[42:43], v[130:131], s[22:23], v[150:151]
	s_delay_alu instid0(VALU_DEP_1) | instskip(SKIP_1) | instid1(VALU_DEP_1)
	v_add_f64_e32 v[22:23], v[42:43], v[22:23]
	v_fma_f64 v[42:43], v[134:135], s[46:47], v[162:163]
	v_add_f64_e32 v[40:41], v[42:43], v[40:41]
	v_fma_f64 v[42:43], v[138:139], s[28:29], v[164:165]
	s_delay_alu instid0(VALU_DEP_1) | instskip(SKIP_1) | instid1(VALU_DEP_1)
	v_add_f64_e32 v[22:23], v[42:43], v[22:23]
	v_fma_f64 v[42:43], v[142:143], s[14:15], v[170:171]
	;; [unrolled: 5-line block ×3, first 2 shown]
	v_add_f64_e32 v[40:41], v[42:43], v[40:41]
	v_fma_f64 v[42:43], v[182:183], s[20:21], v[180:181]
	s_delay_alu instid0(VALU_DEP_1) | instskip(SKIP_2) | instid1(VALU_DEP_2)
	v_add_f64_e32 v[22:23], v[42:43], v[22:23]
	v_fma_f64 v[42:43], v[186:187], s[50:51], v[110:111]
	v_fma_f64 v[110:111], v[186:187], s[0:1], v[110:111]
	v_add_f64_e32 v[42:43], v[42:43], v[40:41]
	v_fma_f64 v[40:41], v[194:195], s[30:31], v[112:113]
	v_fma_f64 v[112:113], v[194:195], s[30:31], -v[112:113]
	s_delay_alu instid0(VALU_DEP_2) | instskip(SKIP_1) | instid1(VALU_DEP_1)
	v_add_f64_e32 v[40:41], v[40:41], v[22:23]
	v_mul_f64_e32 v[22:23], s[30:31], v[2:3]
	v_fma_f64 v[128:129], v[198:199], s[16:17], v[22:23]
	v_fma_f64 v[22:23], v[198:199], s[42:43], v[22:23]
	s_delay_alu instid0(VALU_DEP_2) | instskip(SKIP_1) | instid1(VALU_DEP_1)
	v_add_f64_e32 v[42:43], v[128:129], v[42:43]
	v_fma_f64 v[128:129], v[122:123], s[36:37], -v[146:147]
	v_add_f64_e32 v[0:1], v[128:129], v[0:1]
	v_fma_f64 v[128:129], v[126:127], s[38:39], v[148:149]
	s_delay_alu instid0(VALU_DEP_1) | instskip(SKIP_1) | instid1(VALU_DEP_1)
	v_add_f64_e32 v[124:125], v[128:129], v[124:125]
	v_fma_f64 v[128:129], v[130:131], s[22:23], -v[150:151]
	v_add_f64_e32 v[0:1], v[128:129], v[0:1]
	v_fma_f64 v[128:129], v[134:135], s[4:5], v[162:163]
	s_delay_alu instid0(VALU_DEP_1) | instskip(SKIP_1) | instid1(VALU_DEP_1)
	;; [unrolled: 5-line block ×3, first 2 shown]
	v_add_f64_e32 v[124:125], v[128:129], v[124:125]
	v_fma_f64 v[128:129], v[158:159], s[34:35], -v[172:173]
	v_add_f64_e32 v[0:1], v[128:129], v[0:1]
	v_fma_f64 v[128:129], v[166:167], s[18:19], v[178:179]
	s_delay_alu instid0(VALU_DEP_1) | instskip(SKIP_1) | instid1(VALU_DEP_2)
	v_add_f64_e32 v[124:125], v[128:129], v[124:125]
	v_fma_f64 v[128:129], v[182:183], s[20:21], -v[180:181]
	v_add_f64_e32 v[110:111], v[110:111], v[124:125]
	s_delay_alu instid0(VALU_DEP_2) | instskip(SKIP_1) | instid1(VALU_DEP_3)
	v_add_f64_e32 v[0:1], v[128:129], v[0:1]
	v_mul_f64_e32 v[124:125], s[14:15], v[174:175]
	v_add_f64_e32 v[180:181], v[22:23], v[110:111]
	s_delay_alu instid0(VALU_DEP_3) | instskip(SKIP_3) | instid1(VALU_DEP_3)
	v_add_f64_e32 v[178:179], v[112:113], v[0:1]
	v_mul_f64_e32 v[0:1], s[42:43], v[154:155]
	v_mul_f64_e32 v[110:111], s[30:31], v[156:157]
	v_fma_f64 v[128:129], v[122:123], s[28:29], v[124:125]
	v_fma_f64 v[22:23], v[114:115], s[30:31], v[0:1]
	s_delay_alu instid0(VALU_DEP_3) | instskip(SKIP_2) | instid1(VALU_DEP_4)
	v_fma_f64 v[112:113], v[118:119], s[16:17], v[110:111]
	v_fma_f64 v[0:1], v[114:115], s[30:31], -v[0:1]
	v_fma_f64 v[110:111], v[118:119], s[42:43], v[110:111]
	v_add_f64_e32 v[22:23], v[22:23], v[210:211]
	s_delay_alu instid0(VALU_DEP_4)
	v_add_f64_e32 v[112:113], v[112:113], v[208:209]
	v_mul_f64_e32 v[208:209], s[20:21], v[236:237]
	v_mul_f64_e32 v[210:211], s[48:49], v[18:19]
	;; [unrolled: 1-line block ×3, first 2 shown]
	v_add_f64_e32 v[22:23], v[128:129], v[22:23]
	v_mul_f64_e32 v[128:129], s[28:29], v[176:177]
	s_delay_alu instid0(VALU_DEP_1) | instskip(NEXT) | instid1(VALU_DEP_1)
	v_fma_f64 v[146:147], v[126:127], s[54:55], v[128:129]
	v_add_f64_e32 v[112:113], v[146:147], v[112:113]
	v_mul_f64_e32 v[146:147], s[52:53], v[190:191]
	s_delay_alu instid0(VALU_DEP_1) | instskip(NEXT) | instid1(VALU_DEP_1)
	v_fma_f64 v[148:149], v[130:131], s[24:25], v[146:147]
	v_add_f64_e32 v[22:23], v[148:149], v[22:23]
	v_mul_f64_e32 v[148:149], s[24:25], v[192:193]
	s_delay_alu instid0(VALU_DEP_1) | instskip(NEXT) | instid1(VALU_DEP_1)
	v_fma_f64 v[150:151], v[134:135], s[10:11], v[148:149]
	v_add_f64_e32 v[112:113], v[150:151], v[112:113]
	v_mul_f64_e32 v[150:151], s[38:39], v[202:203]
	s_delay_alu instid0(VALU_DEP_1) | instskip(NEXT) | instid1(VALU_DEP_1)
	v_fma_f64 v[162:163], v[138:139], s[36:37], v[150:151]
	v_add_f64_e32 v[22:23], v[162:163], v[22:23]
	v_mul_f64_e32 v[162:163], s[36:37], v[204:205]
	s_delay_alu instid0(VALU_DEP_1) | instskip(NEXT) | instid1(VALU_DEP_1)
	v_fma_f64 v[164:165], v[142:143], s[40:41], v[162:163]
	v_add_f64_e32 v[112:113], v[164:165], v[112:113]
	v_mul_f64_e32 v[164:165], s[0:1], v[234:235]
	s_delay_alu instid0(VALU_DEP_1) | instskip(NEXT) | instid1(VALU_DEP_1)
	v_fma_f64 v[170:171], v[158:159], s[20:21], v[164:165]
	v_add_f64_e32 v[22:23], v[170:171], v[22:23]
	v_fma_f64 v[170:171], v[166:167], s[50:51], v[208:209]
	s_delay_alu instid0(VALU_DEP_1) | instskip(SKIP_1) | instid1(VALU_DEP_1)
	v_add_f64_e32 v[112:113], v[170:171], v[112:113]
	v_fma_f64 v[170:171], v[182:183], s[34:35], v[210:211]
	v_add_f64_e32 v[22:23], v[170:171], v[22:23]
	v_fma_f64 v[170:171], v[186:187], s[18:19], v[212:213]
	s_delay_alu instid0(VALU_DEP_1) | instskip(SKIP_1) | instid1(VALU_DEP_1)
	v_add_f64_e32 v[112:113], v[170:171], v[112:113]
	v_fma_f64 v[170:171], v[194:195], s[26:27], v[214:215]
	v_add_f64_e32 v[170:171], v[170:171], v[22:23]
	v_mul_f64_e32 v[22:23], s[26:27], v[2:3]
	s_delay_alu instid0(VALU_DEP_1) | instskip(SKIP_1) | instid1(VALU_DEP_2)
	v_fma_f64 v[172:173], v[198:199], s[44:45], v[22:23]
	v_fma_f64 v[22:23], v[198:199], s[12:13], v[22:23]
	v_add_f64_e32 v[172:173], v[172:173], v[112:113]
	scratch_load_b64 v[112:113], off, off offset:248 th:TH_LOAD_LU ; 8-byte Folded Reload
	s_wait_loadcnt 0x0
	v_add_f64_e32 v[0:1], v[0:1], v[112:113]
	scratch_load_b64 v[112:113], off, off offset:240 th:TH_LOAD_LU ; 8-byte Folded Reload
	s_wait_loadcnt 0x0
	v_add_f64_e32 v[110:111], v[110:111], v[112:113]
	v_fma_f64 v[112:113], v[122:123], s[28:29], -v[124:125]
	scratch_load_b64 v[124:125], off, off offset:224 th:TH_LOAD_LU ; 8-byte Folded Reload
	v_add_f64_e32 v[0:1], v[112:113], v[0:1]
	v_fma_f64 v[112:113], v[126:127], s[14:15], v[128:129]
	s_delay_alu instid0(VALU_DEP_1) | instskip(SKIP_1) | instid1(VALU_DEP_1)
	v_add_f64_e32 v[110:111], v[112:113], v[110:111]
	v_fma_f64 v[112:113], v[130:131], s[24:25], -v[146:147]
	v_add_f64_e32 v[0:1], v[112:113], v[0:1]
	v_fma_f64 v[112:113], v[134:135], s[52:53], v[148:149]
	s_delay_alu instid0(VALU_DEP_1) | instskip(SKIP_1) | instid1(VALU_DEP_1)
	v_add_f64_e32 v[110:111], v[112:113], v[110:111]
	v_fma_f64 v[112:113], v[138:139], s[36:37], -v[150:151]
	;; [unrolled: 5-line block ×4, first 2 shown]
	v_add_f64_e32 v[0:1], v[112:113], v[0:1]
	v_fma_f64 v[112:113], v[186:187], s[48:49], v[212:213]
	s_delay_alu instid0(VALU_DEP_1) | instskip(SKIP_1) | instid1(VALU_DEP_2)
	v_add_f64_e32 v[110:111], v[112:113], v[110:111]
	v_fma_f64 v[112:113], v[194:195], s[26:27], -v[214:215]
	v_add_f64_e32 v[164:165], v[22:23], v[110:111]
	scratch_load_b64 v[110:111], off, off offset:232 th:TH_LOAD_LU ; 8-byte Folded Reload
	v_mul_f64_e32 v[22:23], s[40:41], v[154:155]
	v_add_f64_e32 v[162:163], v[112:113], v[0:1]
	s_delay_alu instid0(VALU_DEP_2) | instskip(SKIP_2) | instid1(VALU_DEP_2)
	v_fma_f64 v[0:1], v[114:115], s[36:37], v[22:23]
	v_fma_f64 v[22:23], v[114:115], s[36:37], -v[22:23]
	s_wait_loadcnt 0x0
	v_add_f64_e32 v[0:1], v[0:1], v[110:111]
	v_mul_f64_e32 v[110:111], s[36:37], v[156:157]
	s_delay_alu instid0(VALU_DEP_1) | instskip(SKIP_1) | instid1(VALU_DEP_2)
	v_fma_f64 v[112:113], v[118:119], s[38:39], v[110:111]
	v_fma_f64 v[110:111], v[118:119], s[40:41], v[110:111]
	v_add_f64_e32 v[112:113], v[112:113], v[124:125]
	v_mul_f64_e32 v[124:125], s[4:5], v[174:175]
	s_delay_alu instid0(VALU_DEP_1) | instskip(NEXT) | instid1(VALU_DEP_1)
	v_fma_f64 v[128:129], v[122:123], s[22:23], v[124:125]
	v_add_f64_e32 v[0:1], v[128:129], v[0:1]
	v_mul_f64_e32 v[128:129], s[22:23], v[176:177]
	s_delay_alu instid0(VALU_DEP_1) | instskip(NEXT) | instid1(VALU_DEP_1)
	v_fma_f64 v[146:147], v[126:127], s[46:47], v[128:129]
	v_add_f64_e32 v[112:113], v[146:147], v[112:113]
	v_mul_f64_e32 v[146:147], s[48:49], v[190:191]
	s_delay_alu instid0(VALU_DEP_1) | instskip(NEXT) | instid1(VALU_DEP_1)
	v_fma_f64 v[148:149], v[130:131], s[34:35], v[146:147]
	v_add_f64_e32 v[0:1], v[148:149], v[0:1]
	v_mul_f64_e32 v[148:149], s[34:35], v[192:193]
	s_delay_alu instid0(VALU_DEP_1) | instskip(NEXT) | instid1(VALU_DEP_1)
	v_fma_f64 v[150:151], v[134:135], s[18:19], v[148:149]
	v_add_f64_e32 v[112:113], v[150:151], v[112:113]
	v_mul_f64_e32 v[150:151], s[10:11], v[202:203]
	s_delay_alu instid0(VALU_DEP_1) | instskip(NEXT) | instid1(VALU_DEP_1)
	v_fma_f64 v[154:155], v[138:139], s[24:25], v[150:151]
	v_add_f64_e32 v[0:1], v[154:155], v[0:1]
	v_mul_f64_e32 v[154:155], s[24:25], v[204:205]
	s_delay_alu instid0(VALU_DEP_1) | instskip(NEXT) | instid1(VALU_DEP_1)
	v_fma_f64 v[156:157], v[142:143], s[52:53], v[154:155]
	v_add_f64_e32 v[112:113], v[156:157], v[112:113]
	v_mul_f64_e32 v[156:157], s[42:43], v[234:235]
	s_delay_alu instid0(VALU_DEP_1) | instskip(NEXT) | instid1(VALU_DEP_1)
	v_fma_f64 v[174:175], v[158:159], s[30:31], v[156:157]
	v_add_f64_e32 v[0:1], v[174:175], v[0:1]
	v_mul_f64_e32 v[174:175], s[30:31], v[236:237]
	s_delay_alu instid0(VALU_DEP_1) | instskip(NEXT) | instid1(VALU_DEP_1)
	v_fma_f64 v[176:177], v[166:167], s[16:17], v[174:175]
	v_add_f64_e32 v[112:113], v[176:177], v[112:113]
	v_fma_f64 v[176:177], v[182:183], s[26:27], v[18:19]
	v_fma_f64 v[18:19], v[182:183], s[26:27], -v[18:19]
	s_delay_alu instid0(VALU_DEP_2) | instskip(SKIP_2) | instid1(VALU_DEP_2)
	v_add_f64_e32 v[0:1], v[176:177], v[0:1]
	v_fma_f64 v[176:177], v[186:187], s[44:45], v[6:7]
	v_fma_f64 v[6:7], v[186:187], s[12:13], v[6:7]
	v_add_f64_e32 v[112:113], v[176:177], v[112:113]
	v_mul_f64_e32 v[176:177], s[28:29], v[2:3]
	v_fma_f64 v[2:3], v[194:195], s[28:29], v[4:5]
	v_fma_f64 v[4:5], v[194:195], s[28:29], -v[4:5]
	s_delay_alu instid0(VALU_DEP_2) | instskip(NEXT) | instid1(VALU_DEP_4)
	v_add_f64_e32 v[0:1], v[2:3], v[0:1]
	v_fma_f64 v[2:3], v[198:199], s[14:15], v[176:177]
	s_delay_alu instid0(VALU_DEP_1)
	v_add_f64_e32 v[2:3], v[2:3], v[112:113]
	scratch_load_b64 v[112:113], off, off offset:200 th:TH_LOAD_LU ; 8-byte Folded Reload
	s_wait_loadcnt 0x0
	v_add_f64_e32 v[22:23], v[22:23], v[112:113]
	scratch_load_b64 v[112:113], off, off offset:192 th:TH_LOAD_LU ; 8-byte Folded Reload
	s_wait_loadcnt 0x0
	v_add_f64_e32 v[110:111], v[110:111], v[112:113]
	v_fma_f64 v[112:113], v[122:123], s[22:23], -v[124:125]
	s_delay_alu instid0(VALU_DEP_1) | instskip(SKIP_1) | instid1(VALU_DEP_1)
	v_add_f64_e32 v[22:23], v[112:113], v[22:23]
	v_fma_f64 v[112:113], v[126:127], s[4:5], v[128:129]
	v_add_f64_e32 v[110:111], v[112:113], v[110:111]
	v_fma_f64 v[112:113], v[130:131], s[34:35], -v[146:147]
	s_delay_alu instid0(VALU_DEP_1) | instskip(SKIP_1) | instid1(VALU_DEP_1)
	v_add_f64_e32 v[22:23], v[112:113], v[22:23]
	v_fma_f64 v[112:113], v[134:135], s[48:49], v[148:149]
	;; [unrolled: 5-line block ×3, first 2 shown]
	v_add_f64_e32 v[110:111], v[112:113], v[110:111]
	v_fma_f64 v[112:113], v[158:159], s[30:31], -v[156:157]
	s_delay_alu instid0(VALU_DEP_1) | instskip(SKIP_1) | instid1(VALU_DEP_2)
	v_add_f64_e32 v[22:23], v[112:113], v[22:23]
	v_fma_f64 v[112:113], v[166:167], s[42:43], v[174:175]
	v_add_f64_e32 v[18:19], v[18:19], v[22:23]
	s_delay_alu instid0(VALU_DEP_2) | instskip(SKIP_1) | instid1(VALU_DEP_3)
	v_add_f64_e32 v[110:111], v[112:113], v[110:111]
	v_fma_f64 v[22:23], v[198:199], s[54:55], v[176:177]
	v_add_f64_e32 v[146:147], v[4:5], v[18:19]
	s_delay_alu instid0(VALU_DEP_3)
	v_add_f64_e32 v[6:7], v[6:7], v[110:111]
	v_fma_f64 v[4:5], v[114:115], s[20:21], -v[8:9]
	scratch_load_b64 v[8:9], off, off offset:144 th:TH_LOAD_LU ; 8-byte Folded Reload
	v_fma_f64 v[18:19], v[198:199], s[40:41], v[62:63]
	v_add_f64_e32 v[148:149], v[22:23], v[6:7]
	scratch_load_b64 v[6:7], off, off offset:152 th:TH_LOAD_LU ; 8-byte Folded Reload
	s_wait_loadcnt 0x0
	v_add_f64_e32 v[4:5], v[4:5], v[6:7]
	v_fma_f64 v[6:7], v[118:119], s[0:1], v[12:13]
	scratch_load_b64 v[12:13], off, off offset:96 th:TH_LOAD_LU ; 8-byte Folded Reload
	v_add_f64_e32 v[6:7], v[6:7], v[8:9]
	v_fma_f64 v[8:9], v[122:123], s[26:27], -v[10:11]
	v_fma_f64 v[10:11], v[198:199], s[48:49], v[30:31]
	s_delay_alu instid0(VALU_DEP_2)
	v_add_f64_e32 v[4:5], v[8:9], v[4:5]
	v_fma_f64 v[8:9], v[126:127], s[44:45], v[16:17]
	scratch_load_b64 v[16:17], off, off offset:64 th:TH_LOAD_LU ; 8-byte Folded Reload
	v_add_f64_e32 v[6:7], v[8:9], v[6:7]
	v_fma_f64 v[8:9], v[130:131], s[36:37], -v[14:15]
	v_fma_f64 v[14:15], v[198:199], s[4:5], v[52:53]
	s_delay_alu instid0(VALU_DEP_2) | instskip(SKIP_1) | instid1(VALU_DEP_1)
	v_add_f64_e32 v[4:5], v[8:9], v[4:5]
	v_fma_f64 v[8:9], v[134:135], s[40:41], v[24:25]
	v_add_f64_e32 v[6:7], v[8:9], v[6:7]
	v_fma_f64 v[8:9], v[138:139], s[30:31], -v[20:21]
	s_delay_alu instid0(VALU_DEP_1) | instskip(SKIP_1) | instid1(VALU_DEP_1)
	v_add_f64_e32 v[4:5], v[8:9], v[4:5]
	v_fma_f64 v[8:9], v[142:143], s[16:17], v[28:29]
	v_add_f64_e32 v[6:7], v[8:9], v[6:7]
	v_fma_f64 v[8:9], v[158:159], s[22:23], -v[26:27]
	s_delay_alu instid0(VALU_DEP_1) | instskip(SKIP_1) | instid1(VALU_DEP_1)
	;; [unrolled: 5-line block ×3, first 2 shown]
	v_add_f64_e32 v[4:5], v[8:9], v[4:5]
	v_fma_f64 v[8:9], v[186:187], s[52:53], v[50:51]
	v_add_f64_e32 v[6:7], v[8:9], v[6:7]
	v_fma_f64 v[8:9], v[194:195], s[34:35], -v[44:45]
	s_delay_alu instid0(VALU_DEP_2) | instskip(SKIP_4) | instid1(VALU_DEP_1)
	v_add_f64_e32 v[6:7], v[10:11], v[6:7]
	scratch_load_b64 v[10:11], off, off offset:104 th:TH_LOAD_LU ; 8-byte Folded Reload
	v_add_f64_e32 v[4:5], v[8:9], v[4:5]
	v_fma_f64 v[8:9], v[114:115], s[24:25], -v[238:239]
	s_wait_loadcnt 0x0
	v_add_f64_e32 v[8:9], v[8:9], v[10:11]
	v_fma_f64 v[10:11], v[118:119], s[10:11], v[240:241]
	s_delay_alu instid0(VALU_DEP_1) | instskip(SKIP_1) | instid1(VALU_DEP_1)
	v_add_f64_e32 v[10:11], v[10:11], v[12:13]
	v_fma_f64 v[12:13], v[122:123], s[20:21], -v[242:243]
	v_add_f64_e32 v[8:9], v[12:13], v[8:9]
	v_fma_f64 v[12:13], v[126:127], s[50:51], v[244:245]
	s_delay_alu instid0(VALU_DEP_1) | instskip(SKIP_1) | instid1(VALU_DEP_1)
	v_add_f64_e32 v[10:11], v[12:13], v[10:11]
	v_fma_f64 v[12:13], v[130:131], s[26:27], -v[246:247]
	;; [unrolled: 5-line block ×5, first 2 shown]
	v_add_f64_e32 v[8:9], v[12:13], v[8:9]
	v_fma_f64 v[12:13], v[186:187], s[14:15], v[60:61]
	s_delay_alu instid0(VALU_DEP_1) | instskip(SKIP_1) | instid1(VALU_DEP_2)
	v_add_f64_e32 v[10:11], v[12:13], v[10:11]
	v_fma_f64 v[12:13], v[194:195], s[22:23], -v[54:55]
	v_add_f64_e32 v[10:11], v[14:15], v[10:11]
	scratch_load_b64 v[14:15], off, off offset:72 th:TH_LOAD_LU ; 8-byte Folded Reload
	v_add_f64_e32 v[8:9], v[12:13], v[8:9]
	v_fma_f64 v[12:13], v[114:115], s[28:29], -v[144:145]
	s_wait_loadcnt 0x0
	s_delay_alu instid0(VALU_DEP_1) | instskip(SKIP_1) | instid1(VALU_DEP_1)
	v_add_f64_e32 v[12:13], v[12:13], v[14:15]
	v_fma_f64 v[14:15], v[118:119], s[14:15], v[80:81]
	v_add_f64_e32 v[14:15], v[14:15], v[16:17]
	v_fma_f64 v[16:17], v[122:123], s[24:25], -v[78:79]
	s_delay_alu instid0(VALU_DEP_1) | instskip(SKIP_1) | instid1(VALU_DEP_1)
	v_add_f64_e32 v[12:13], v[16:17], v[12:13]
	v_fma_f64 v[16:17], v[126:127], s[10:11], v[70:71]
	v_add_f64_e32 v[14:15], v[16:17], v[14:15]
	v_fma_f64 v[16:17], v[130:131], s[20:21], -v[68:69]
	;; [unrolled: 5-line block ×6, first 2 shown]
	s_delay_alu instid0(VALU_DEP_2) | instskip(NEXT) | instid1(VALU_DEP_2)
	v_add_f64_e32 v[14:15], v[18:19], v[14:15]
	v_add_f64_e32 v[12:13], v[16:17], v[12:13]
	s_clause 0x1
	scratch_load_b64 v[16:17], off, off offset:32 th:TH_LOAD_LU
	scratch_load_b64 v[18:19], off, off offset:88 th:TH_LOAD_LU
	s_wait_loadcnt 0x0
	v_add_f64_e32 v[16:17], v[16:17], v[18:19]
	s_clause 0x3
	scratch_load_b64 v[18:19], off, off offset:40 th:TH_LOAD_LU
	scratch_load_b64 v[20:21], off, off offset:80 th:TH_LOAD_LU
	;; [unrolled: 1-line block ×4, first 2 shown]
	s_wait_loadcnt 0x2
	v_add_f64_e32 v[18:19], v[18:19], v[20:21]
	scratch_load_b64 v[20:21], off, off offset:136 th:TH_LOAD_LU ; 8-byte Folded Reload
	s_wait_loadcnt 0x2
	v_fma_f64 v[22:23], v[126:127], s[16:17], v[22:23]
	s_wait_loadcnt 0x1
	v_fma_f64 v[26:27], v[134:135], s[14:15], v[26:27]
	s_wait_loadcnt 0x0
	v_add_f64_e32 v[16:17], v[16:17], v[20:21]
	scratch_load_b64 v[20:21], off, off offset:128 th:TH_LOAD_LU ; 8-byte Folded Reload
	s_wait_loadcnt 0x0
	v_add_f64_e32 v[18:19], v[18:19], v[20:21]
	scratch_load_b64 v[20:21], off, off offset:184 th:TH_LOAD_LU ; 8-byte Folded Reload
	;; [unrolled: 3-line block ×9, first 2 shown]
	v_add_f64_e32 v[16:17], v[16:17], v[116:117]
	s_wait_loadcnt 0x0
	v_add_f64_e32 v[18:19], v[18:19], v[20:21]
	scratch_load_b64 v[20:21], off, off offset:328 th:TH_LOAD_LU ; 8-byte Folded Reload
	v_add_f64_e32 v[18:19], v[18:19], v[132:133]
	s_wait_loadcnt 0x0
	v_add_f64_e32 v[16:17], v[16:17], v[20:21]
	scratch_load_b64 v[20:21], off, off offset:320 th:TH_LOAD_LU ; 8-byte Folded Reload
	s_wait_loadcnt 0x0
	v_add_f64_e32 v[18:19], v[18:19], v[20:21]
	scratch_load_b64 v[20:21], off, off offset:288 th:TH_LOAD_LU ; 8-byte Folded Reload
	s_wait_loadcnt 0x0
	v_add_f64_e32 v[16:17], v[16:17], v[20:21]
	scratch_load_b64 v[20:21], off, off offset:280 th:TH_LOAD_LU ; 8-byte Folded Reload
	s_wait_loadcnt 0x0
	v_add_f64_e32 v[18:19], v[18:19], v[20:21]
	scratch_load_b64 v[20:21], off, off offset:256 th:TH_LOAD_LU ; 8-byte Folded Reload
	v_add_f64_e32 v[18:19], v[18:19], v[152:153]
	s_delay_alu instid0(VALU_DEP_1) | instskip(NEXT) | instid1(VALU_DEP_1)
	v_add_f64_e32 v[18:19], v[18:19], v[90:91]
	v_add_f64_e32 v[18:19], v[18:19], v[96:97]
	s_delay_alu instid0(VALU_DEP_1) | instskip(NEXT) | instid1(VALU_DEP_1)
	v_add_f64_e32 v[18:19], v[18:19], v[100:101]
	v_add_f64_e32 v[18:19], v[18:19], v[104:105]
	s_delay_alu instid0(VALU_DEP_1)
	v_add_f64_e32 v[46:47], v[18:19], v[86:87]
	scratch_load_b64 v[18:19], off, off offset:56 th:TH_LOAD_LU ; 8-byte Folded Reload
	s_wait_loadcnt 0x1
	v_add_f64_e32 v[16:17], v[16:17], v[20:21]
	s_clause 0x1
	scratch_load_b64 v[20:21], off, off offset:112 th:TH_LOAD_LU
	scratch_load_b64 v[24:25], off, off th:TH_LOAD_LU
	v_add_f64_e32 v[16:17], v[16:17], v[88:89]
	s_delay_alu instid0(VALU_DEP_1) | instskip(NEXT) | instid1(VALU_DEP_1)
	v_add_f64_e32 v[16:17], v[16:17], v[94:95]
	v_add_f64_e32 v[16:17], v[16:17], v[98:99]
	s_delay_alu instid0(VALU_DEP_1) | instskip(NEXT) | instid1(VALU_DEP_1)
	v_add_f64_e32 v[16:17], v[16:17], v[102:103]
	v_add_f64_e32 v[44:45], v[16:17], v[92:93]
	scratch_load_b64 v[16:17], off, off offset:48 th:TH_LOAD_LU ; 8-byte Folded Reload
	s_wait_loadcnt 0x2
	v_fma_f64 v[20:21], v[122:123], s[30:31], -v[20:21]
	s_wait_loadcnt 0x0
	v_fma_f64 v[16:17], v[114:115], s[34:35], -v[16:17]
	s_delay_alu instid0(VALU_DEP_1)
	v_add_f64_e32 v[16:17], v[16:17], v[24:25]
	scratch_load_b64 v[24:25], off, off offset:16 th:TH_LOAD_LU ; 8-byte Folded Reload
	v_fma_f64 v[18:19], v[118:119], s[18:19], v[18:19]
	v_add_f64_e32 v[16:17], v[20:21], v[16:17]
	v_fma_f64 v[20:21], v[138:139], s[26:27], -v[84:85]
	s_wait_loadcnt 0x0
	s_delay_alu instid0(VALU_DEP_3)
	v_add_f64_e32 v[18:19], v[18:19], v[24:25]
	scratch_load_b64 v[24:25], off, off offset:160 th:TH_LOAD_LU ; 8-byte Folded Reload
	global_wb scope:SCOPE_SE
	s_wait_loadcnt 0x0
	s_wait_storecnt 0x0
	s_barrier_signal -1
	s_barrier_wait -1
	global_inv scope:SCOPE_SE
	v_add_f64_e32 v[18:19], v[22:23], v[18:19]
	v_fma_f64 v[22:23], v[142:143], s[12:13], v[82:83]
	s_delay_alu instid0(VALU_DEP_2) | instskip(SKIP_1) | instid1(VALU_DEP_2)
	v_add_f64_e32 v[18:19], v[26:27], v[18:19]
	v_fma_f64 v[26:27], v[166:167], s[10:11], v[168:169]
	v_add_f64_e32 v[18:19], v[22:23], v[18:19]
	v_fma_f64 v[22:23], v[186:187], s[4:5], v[188:189]
	s_delay_alu instid0(VALU_DEP_2) | instskip(NEXT) | instid1(VALU_DEP_1)
	v_add_f64_e32 v[18:19], v[26:27], v[18:19]
	v_add_f64_e32 v[18:19], v[22:23], v[18:19]
	v_fma_f64 v[22:23], v[198:199], s[0:1], v[200:201]
	v_cmp_gt_u32_e64 s0, 0x55, v230
	s_delay_alu instid0(VALU_DEP_2) | instskip(SKIP_1) | instid1(VALU_DEP_1)
	v_add_f64_e32 v[18:19], v[22:23], v[18:19]
                                        ; implicit-def: $vgpr22_vgpr23
	v_fma_f64 v[24:25], v[130:131], s[28:29], -v[24:25]
	v_add_f64_e32 v[16:17], v[24:25], v[16:17]
	v_fma_f64 v[24:25], v[158:159], s[24:25], -v[160:161]
	s_delay_alu instid0(VALU_DEP_2) | instskip(SKIP_1) | instid1(VALU_DEP_2)
	v_add_f64_e32 v[16:17], v[20:21], v[16:17]
	v_fma_f64 v[20:21], v[182:183], s[22:23], -v[184:185]
	v_add_f64_e32 v[16:17], v[24:25], v[16:17]
	s_delay_alu instid0(VALU_DEP_1) | instskip(SKIP_1) | instid1(VALU_DEP_1)
	v_add_f64_e32 v[16:17], v[20:21], v[16:17]
	v_fma_f64 v[20:21], v[194:195], s[20:21], -v[196:197]
	v_add_f64_e32 v[16:17], v[20:21], v[16:17]
	v_and_b32_e32 v20, 0xffff, v231
	v_lshlrev_b32_e32 v21, 4, v121
	s_delay_alu instid0(VALU_DEP_2) | instskip(NEXT) | instid1(VALU_DEP_1)
	v_mul_u32_u24_e32 v20, 0x1210, v20
	v_add3_u32 v20, 0, v20, v21
	ds_store_b128 v20, v[226:229] offset:544
	ds_store_b128 v20, v[106:109] offset:816
	;; [unrolled: 1-line block ×13, first 2 shown]
	ds_store_b128 v20, v[44:47]
	ds_store_b128 v20, v[8:11] offset:3808
	ds_store_b128 v20, v[12:15] offset:4080
	;; [unrolled: 1-line block ×3, first 2 shown]
	global_wb scope:SCOPE_SE
	s_wait_dscnt 0x0
	s_barrier_signal -1
	s_barrier_wait -1
	global_inv scope:SCOPE_SE
	ds_load_b128 v[28:31], v120
	ds_load_b128 v[24:27], v120 offset:1632
	ds_load_b128 v[40:43], v120 offset:4624
	;; [unrolled: 1-line block ×11, first 2 shown]
	s_and_saveexec_b32 s1, s0
	s_cbranch_execz .LBB0_23
; %bb.22:
	ds_load_b128 v[216:219], v120 offset:3264
	ds_load_b128 v[4:7], v120 offset:7888
	;; [unrolled: 1-line block ×6, first 2 shown]
.LBB0_23:
	s_wait_alu 0xfffe
	s_or_b32 exec_lo, exec_lo, s1
	v_mul_u32_u24_e32 v0, 5, v230
	s_mov_b32 s4, 0xe8584caa
	s_mov_b32 s5, 0xbfebb67a
	;; [unrolled: 1-line block ×3, first 2 shown]
	s_wait_alu 0xfffe
	s_mov_b32 s10, s4
	v_lshlrev_b32_e32 v74, 4, v0
	s_clause 0x9
	global_load_b128 v[0:3], v74, s[8:9] offset:4384
	global_load_b128 v[78:81], v74, s[8:9] offset:4416
	;; [unrolled: 1-line block ×10, first 2 shown]
	global_wb scope:SCOPE_SE
	s_wait_loadcnt_dscnt 0x0
	s_barrier_signal -1
	s_barrier_wait -1
	global_inv scope:SCOPE_SE
	v_mul_f64_e32 v[74:75], v[64:65], v[2:3]
	v_mul_f64_e32 v[76:77], v[68:69], v[80:81]
	;; [unrolled: 1-line block ×7, first 2 shown]
	v_fma_f64 v[66:67], v[66:67], v[0:1], -v[74:75]
	v_fma_f64 v[70:71], v[70:71], v[78:79], -v[76:77]
	v_mul_f64_e32 v[74:75], v[32:33], v[96:97]
	v_mul_f64_e32 v[76:77], v[58:59], v[84:85]
	;; [unrolled: 1-line block ×3, first 2 shown]
	v_fma_f64 v[58:59], v[58:59], v[82:83], -v[110:111]
	v_fma_f64 v[62:63], v[62:63], v[86:87], -v[112:113]
	v_mul_f64_e32 v[88:89], v[42:43], v[92:93]
	v_mul_f64_e32 v[92:93], v[50:51], v[100:101]
	;; [unrolled: 1-line block ×5, first 2 shown]
	v_fma_f64 v[0:1], v[64:65], v[0:1], v[2:3]
	v_fma_f64 v[2:3], v[68:69], v[78:79], v[80:81]
	v_fma_f64 v[42:43], v[42:43], v[90:91], -v[118:119]
	v_mul_f64_e32 v[96:97], v[34:35], v[96:97]
	v_mul_f64_e32 v[68:69], v[38:39], v[108:109]
	;; [unrolled: 1-line block ×5, first 2 shown]
	v_add_f64_e32 v[64:65], v[66:67], v[70:71]
	v_fma_f64 v[34:35], v[34:35], v[94:95], -v[74:75]
	v_fma_f64 v[56:57], v[56:57], v[82:83], v[76:77]
	v_fma_f64 v[60:61], v[60:61], v[86:87], v[84:85]
	v_add_f64_e64 v[86:87], v[66:67], -v[70:71]
	v_add_f64_e32 v[74:75], v[58:59], v[62:63]
	v_fma_f64 v[40:41], v[40:41], v[90:91], v[88:89]
	v_fma_f64 v[48:49], v[48:49], v[98:99], v[92:93]
	v_fma_f64 v[50:51], v[50:51], v[98:99], -v[100:101]
	v_fma_f64 v[52:53], v[52:53], v[102:103], v[110:111]
	v_fma_f64 v[54:55], v[54:55], v[102:103], -v[104:105]
	v_add_f64_e64 v[92:93], v[58:59], -v[62:63]
	v_add_f64_e32 v[76:77], v[0:1], v[2:3]
	v_add_f64_e64 v[82:83], v[0:1], -v[2:3]
	v_fma_f64 v[32:33], v[32:33], v[94:95], v[96:97]
	v_fma_f64 v[36:37], v[36:37], v[106:107], v[68:69]
	v_fma_f64 v[38:39], v[38:39], v[106:107], -v[78:79]
	v_fma_f64 v[44:45], v[44:45], v[114:115], v[80:81]
	v_fma_f64 v[46:47], v[46:47], v[114:115], -v[108:109]
	v_fma_f64 v[64:65], v[64:65], -0.5, v[42:43]
	v_add_f64_e32 v[68:69], v[56:57], v[60:61]
	v_add_f64_e64 v[78:79], v[56:57], -v[60:61]
	v_fma_f64 v[74:75], v[74:75], -0.5, v[34:35]
	v_add_f64_e32 v[0:1], v[40:41], v[0:1]
	v_add_f64_e32 v[34:35], v[34:35], v[58:59]
	;; [unrolled: 1-line block ×4, first 2 shown]
	v_add_f64_e64 v[96:97], v[50:51], -v[54:55]
	v_fma_f64 v[76:77], v[76:77], -0.5, v[40:41]
	v_add_f64_e32 v[50:51], v[30:31], v[50:51]
	v_add_f64_e32 v[40:41], v[42:43], v[66:67]
	v_add_f64_e32 v[42:43], v[24:25], v[36:37]
	v_add_f64_e32 v[90:91], v[38:39], v[46:47]
	v_add_f64_e64 v[66:67], v[38:39], -v[46:47]
	v_add_f64_e32 v[38:39], v[26:27], v[38:39]
	s_wait_alu 0xfffe
	v_fma_f64 v[88:89], v[82:83], s[10:11], v[64:65]
	v_fma_f64 v[64:65], v[82:83], s[4:5], v[64:65]
	v_add_f64_e32 v[82:83], v[36:37], v[44:45]
	v_fma_f64 v[68:69], v[68:69], -0.5, v[32:33]
	v_add_f64_e32 v[32:33], v[32:33], v[56:57]
	v_fma_f64 v[94:95], v[78:79], s[10:11], v[74:75]
	v_fma_f64 v[74:75], v[78:79], s[4:5], v[74:75]
	v_add_f64_e32 v[78:79], v[28:29], v[48:49]
	v_add_f64_e64 v[48:49], v[48:49], -v[52:53]
	v_fma_f64 v[28:29], v[80:81], -0.5, v[28:29]
	v_fma_f64 v[30:31], v[84:85], -0.5, v[30:31]
	v_add_f64_e64 v[36:37], v[36:37], -v[44:45]
	v_fma_f64 v[56:57], v[86:87], s[4:5], v[76:77]
	v_fma_f64 v[58:59], v[86:87], s[10:11], v[76:77]
	v_add_f64_e32 v[50:51], v[50:51], v[54:55]
	v_add_f64_e32 v[54:55], v[0:1], v[2:3]
	;; [unrolled: 1-line block ×4, first 2 shown]
	v_fma_f64 v[26:27], v[90:91], -0.5, v[26:27]
	v_add_f64_e32 v[34:35], v[34:35], v[62:63]
	v_add_f64_e32 v[38:39], v[38:39], v[46:47]
	v_mul_f64_e32 v[76:77], s[4:5], v[88:89]
	v_mul_f64_e32 v[84:85], 0.5, v[88:89]
	v_mul_f64_e32 v[80:81], s[4:5], v[64:65]
	v_mul_f64_e32 v[64:65], -0.5, v[64:65]
	v_fma_f64 v[24:25], v[82:83], -0.5, v[24:25]
	v_fma_f64 v[82:83], v[92:93], s[4:5], v[68:69]
	v_mul_f64_e32 v[86:87], s[4:5], v[94:95]
	v_mul_f64_e32 v[88:89], 0.5, v[94:95]
	v_fma_f64 v[68:69], v[92:93], s[10:11], v[68:69]
	v_mul_f64_e32 v[90:91], s[4:5], v[74:75]
	v_mul_f64_e32 v[74:75], -0.5, v[74:75]
	v_add_f64_e32 v[52:53], v[78:79], v[52:53]
	v_add_f64_e32 v[32:33], v[32:33], v[60:61]
	v_fma_f64 v[44:45], v[96:97], s[4:5], v[28:29]
	v_fma_f64 v[60:61], v[48:49], s[10:11], v[30:31]
	;; [unrolled: 1-line block ×4, first 2 shown]
	v_add_f64_e32 v[2:3], v[50:51], v[40:41]
	v_fma_f64 v[78:79], v[36:37], s[4:5], v[26:27]
	v_add_f64_e32 v[30:31], v[38:39], v[34:35]
	v_add_f64_e64 v[34:35], v[38:39], -v[34:35]
	v_fma_f64 v[48:49], v[56:57], 0.5, v[76:77]
	v_fma_f64 v[56:57], v[56:57], s[10:11], v[84:85]
	v_fma_f64 v[70:71], v[58:59], -0.5, v[80:81]
	v_fma_f64 v[58:59], v[58:59], s[10:11], v[64:65]
	v_fma_f64 v[64:65], v[66:67], s[4:5], v[24:25]
	;; [unrolled: 1-line block ×3, first 2 shown]
	v_fma_f64 v[80:81], v[82:83], 0.5, v[86:87]
	v_fma_f64 v[82:83], v[82:83], s[10:11], v[88:89]
	v_fma_f64 v[66:67], v[66:67], s[10:11], v[24:25]
	v_fma_f64 v[84:85], v[68:69], -0.5, v[90:91]
	v_fma_f64 v[68:69], v[68:69], s[10:11], v[74:75]
	v_add_f64_e32 v[0:1], v[52:53], v[54:55]
	v_add_f64_e32 v[28:29], v[42:43], v[32:33]
	v_add_f64_e64 v[24:25], v[52:53], -v[54:55]
	v_add_f64_e64 v[26:27], v[50:51], -v[40:41]
	v_add_f64_e64 v[32:33], v[42:43], -v[32:33]
	v_add_f64_e32 v[36:37], v[44:45], v[48:49]
	v_add_f64_e32 v[38:39], v[60:61], v[56:57]
	;; [unrolled: 1-line block ×4, first 2 shown]
	v_add_f64_e64 v[44:45], v[44:45], -v[48:49]
	v_add_f64_e64 v[48:49], v[46:47], -v[70:71]
	v_add_f64_e32 v[52:53], v[64:65], v[80:81]
	v_add_f64_e32 v[54:55], v[76:77], v[82:83]
	v_add_f64_e64 v[46:47], v[60:61], -v[56:57]
	v_add_f64_e64 v[50:51], v[62:63], -v[58:59]
	v_add_f64_e32 v[56:57], v[66:67], v[84:85]
	v_add_f64_e32 v[58:59], v[78:79], v[68:69]
	v_add_f64_e64 v[60:61], v[64:65], -v[80:81]
	v_add_f64_e64 v[62:63], v[76:77], -v[82:83]
	;; [unrolled: 1-line block ×4, first 2 shown]
	ds_store_b128 v120, v[0:3]
	ds_store_b128 v120, v[28:31] offset:1632
	ds_store_b128 v120, v[24:27] offset:13872
	;; [unrolled: 1-line block ×11, first 2 shown]
	s_and_saveexec_b32 s1, s0
	s_cbranch_execz .LBB0_25
; %bb.24:
	v_add_nc_u32_e32 v0, 0xcc, v230
	v_add_nc_u32_e32 v1, 0xffffffab, v230
	s_delay_alu instid0(VALU_DEP_1) | instskip(SKIP_1) | instid1(VALU_DEP_2)
	v_cndmask_b32_e64 v0, v1, v0, s0
	v_mov_b32_e32 v1, 0
	v_mul_i32_i24_e32 v0, 5, v0
	s_delay_alu instid0(VALU_DEP_1) | instskip(NEXT) | instid1(VALU_DEP_1)
	v_lshlrev_b64_e32 v[0:1], 4, v[0:1]
	v_add_co_u32 v36, s0, s8, v0
	s_wait_alu 0xf1ff
	s_delay_alu instid0(VALU_DEP_2)
	v_add_co_ci_u32_e64 v37, s0, s9, v1, s0
	s_clause 0x4
	global_load_b128 v[0:3], v[36:37], off offset:4384
	global_load_b128 v[24:27], v[36:37], off offset:4416
	;; [unrolled: 1-line block ×5, first 2 shown]
	s_wait_loadcnt 0x4
	v_mul_f64_e32 v[40:41], v[12:13], v[2:3]
	s_wait_loadcnt 0x3
	v_mul_f64_e32 v[42:43], v[20:21], v[26:27]
	v_mul_f64_e32 v[2:3], v[14:15], v[2:3]
	;; [unrolled: 1-line block ×3, first 2 shown]
	s_wait_loadcnt 0x2
	v_mul_f64_e32 v[44:45], v[4:5], v[30:31]
	v_mul_f64_e32 v[30:31], v[6:7], v[30:31]
	v_fma_f64 v[14:15], v[14:15], v[0:1], -v[40:41]
	v_fma_f64 v[22:23], v[22:23], v[24:25], -v[42:43]
	s_wait_loadcnt 0x1
	v_mul_f64_e32 v[40:41], v[8:9], v[34:35]
	s_wait_loadcnt 0x0
	v_mul_f64_e32 v[42:43], v[16:17], v[38:39]
	v_mul_f64_e32 v[34:35], v[10:11], v[34:35]
	;; [unrolled: 1-line block ×3, first 2 shown]
	v_fma_f64 v[0:1], v[12:13], v[0:1], v[2:3]
	v_fma_f64 v[2:3], v[20:21], v[24:25], v[26:27]
	v_fma_f64 v[6:7], v[6:7], v[28:29], -v[44:45]
	v_fma_f64 v[4:5], v[4:5], v[28:29], v[30:31]
	v_add_f64_e32 v[12:13], v[14:15], v[22:23]
	v_fma_f64 v[10:11], v[10:11], v[32:33], -v[40:41]
	v_fma_f64 v[18:19], v[18:19], v[36:37], -v[42:43]
	v_fma_f64 v[8:9], v[8:9], v[32:33], v[34:35]
	v_fma_f64 v[16:17], v[16:17], v[36:37], v[38:39]
	v_add_f64_e64 v[28:29], v[14:15], -v[22:23]
	v_add_f64_e32 v[20:21], v[0:1], v[2:3]
	v_add_f64_e64 v[24:25], v[0:1], -v[2:3]
	v_add_f64_e32 v[0:1], v[4:5], v[0:1]
	v_fma_f64 v[12:13], v[12:13], -0.5, v[6:7]
	v_add_f64_e32 v[34:35], v[218:219], v[10:11]
	v_add_f64_e32 v[26:27], v[10:11], v[18:19]
	;; [unrolled: 1-line block ×4, first 2 shown]
	v_add_f64_e64 v[10:11], v[10:11], -v[18:19]
	v_fma_f64 v[20:21], v[20:21], -0.5, v[4:5]
	v_fma_f64 v[32:33], v[24:25], s[4:5], v[12:13]
	v_fma_f64 v[12:13], v[24:25], s[10:11], v[12:13]
	v_add_f64_e64 v[24:25], v[8:9], -v[16:17]
	v_add_f64_e32 v[8:9], v[216:217], v[8:9]
	v_fma_f64 v[4:5], v[26:27], -0.5, v[218:219]
	v_fma_f64 v[14:15], v[30:31], -0.5, v[216:217]
	v_fma_f64 v[26:27], v[28:29], s[10:11], v[20:21]
	v_fma_f64 v[20:21], v[28:29], s[4:5], v[20:21]
	v_add_f64_e32 v[18:19], v[34:35], v[18:19]
	v_add_f64_e32 v[6:7], v[6:7], v[22:23]
	v_mul_f64_e32 v[30:31], -0.5, v[32:33]
	v_mul_f64_e32 v[28:29], 0.5, v[12:13]
	v_mul_f64_e32 v[12:13], s[4:5], v[12:13]
	v_mul_f64_e32 v[32:33], s[4:5], v[32:33]
	v_add_f64_e32 v[8:9], v[8:9], v[16:17]
	v_add_f64_e32 v[16:17], v[0:1], v[2:3]
	v_fma_f64 v[22:23], v[24:25], s[4:5], v[4:5]
	v_fma_f64 v[24:25], v[24:25], s[10:11], v[4:5]
	;; [unrolled: 1-line block ×4, first 2 shown]
	v_add_f64_e64 v[2:3], v[18:19], -v[6:7]
	v_add_f64_e32 v[6:7], v[18:19], v[6:7]
	v_fma_f64 v[30:31], v[26:27], s[10:11], v[30:31]
	v_fma_f64 v[28:29], v[20:21], s[10:11], v[28:29]
	v_fma_f64 v[20:21], v[20:21], 0.5, v[12:13]
	v_fma_f64 v[26:27], v[26:27], -0.5, v[32:33]
	v_add_f64_e32 v[4:5], v[8:9], v[16:17]
	v_add_f64_e64 v[0:1], v[8:9], -v[16:17]
	v_add_f64_e32 v[14:15], v[22:23], v[30:31]
	v_add_f64_e32 v[18:19], v[24:25], v[28:29]
	;; [unrolled: 1-line block ×4, first 2 shown]
	v_add_f64_e64 v[10:11], v[22:23], -v[30:31]
	v_add_f64_e64 v[22:23], v[24:25], -v[28:29]
	;; [unrolled: 1-line block ×4, first 2 shown]
	ds_store_b128 v120, v[4:7] offset:3264
	ds_store_b128 v120, v[16:19] offset:7888
	;; [unrolled: 1-line block ×6, first 2 shown]
.LBB0_25:
	s_wait_alu 0xfffe
	s_or_b32 exec_lo, exec_lo, s1
	global_wb scope:SCOPE_SE
	s_wait_dscnt 0x0
	s_barrier_signal -1
	s_barrier_wait -1
	global_inv scope:SCOPE_SE
	s_and_saveexec_b32 s0, vcc_lo
	s_cbranch_execz .LBB0_27
; %bb.26:
	v_mul_lo_u32 v2, s3, v232
	v_mul_lo_u32 v3, s2, v233
	v_mad_co_u64_u32 v[0:1], null, s2, v232, 0
	v_dual_mov_b32 v231, 0 :: v_dual_add_nc_u32 v10, 0x66, v230
	v_lshlrev_b64_e32 v[8:9], 4, v[72:73]
	v_lshl_add_u32 v28, v230, 4, 0
	s_delay_alu instid0(VALU_DEP_3) | instskip(SKIP_4) | instid1(VALU_DEP_4)
	v_dual_mov_b32 v11, v231 :: v_dual_add_nc_u32 v12, 0xcc, v230
	v_add3_u32 v1, v1, v3, v2
	v_lshlrev_b64_e32 v[14:15], 4, v[230:231]
	v_dual_mov_b32 v13, v231 :: v_dual_add_nc_u32 v22, 0x132, v230
	v_dual_mov_b32 v23, v231 :: v_dual_add_nc_u32 v24, 0x198, v230
	v_lshlrev_b64_e32 v[16:17], 4, v[0:1]
	ds_load_b128 v[0:3], v28
	ds_load_b128 v[4:7], v28 offset:1632
	v_mov_b32_e32 v25, v231
	v_lshlrev_b64_e32 v[22:23], 4, v[22:23]
	v_add_co_u32 v18, vcc_lo, s6, v16
	s_wait_alu 0xfffd
	v_add_co_ci_u32_e32 v19, vcc_lo, s7, v17, vcc_lo
	v_lshlrev_b64_e32 v[16:17], 4, v[10:11]
	s_delay_alu instid0(VALU_DEP_3) | instskip(SKIP_1) | instid1(VALU_DEP_3)
	v_add_co_u32 v30, vcc_lo, v18, v8
	s_wait_alu 0xfffd
	v_add_co_ci_u32_e32 v31, vcc_lo, v19, v9, vcc_lo
	v_lshlrev_b64_e32 v[18:19], 4, v[12:13]
	s_delay_alu instid0(VALU_DEP_3) | instskip(SKIP_1) | instid1(VALU_DEP_3)
	v_add_co_u32 v20, vcc_lo, v30, v14
	s_wait_alu 0xfffd
	v_add_co_ci_u32_e32 v21, vcc_lo, v31, v15, vcc_lo
	ds_load_b128 v[8:11], v28 offset:3264
	ds_load_b128 v[12:15], v28 offset:4896
	v_add_co_u32 v16, vcc_lo, v30, v16
	s_wait_alu 0xfffd
	v_add_co_ci_u32_e32 v17, vcc_lo, v31, v17, vcc_lo
	v_add_co_u32 v18, vcc_lo, v30, v18
	s_wait_alu 0xfffd
	v_add_co_ci_u32_e32 v19, vcc_lo, v31, v19, vcc_lo
	;; [unrolled: 3-line block ×3, first 2 shown]
	s_wait_dscnt 0x3
	global_store_b128 v[20:21], v[0:3], off
	s_wait_dscnt 0x2
	global_store_b128 v[16:17], v[4:7], off
	;; [unrolled: 2-line block ×4, first 2 shown]
	v_add_nc_u32_e32 v8, 0x1fe, v230
	v_lshlrev_b64_e32 v[0:1], 4, v[24:25]
	v_dual_mov_b32 v9, v231 :: v_dual_add_nc_u32 v10, 0x264, v230
	v_dual_mov_b32 v11, v231 :: v_dual_add_nc_u32 v22, 0x2ca, v230
	;; [unrolled: 1-line block ×3, first 2 shown]
	s_delay_alu instid0(VALU_DEP_4)
	v_add_co_u32 v16, vcc_lo, v30, v0
	s_wait_alu 0xfffd
	v_add_co_ci_u32_e32 v17, vcc_lo, v31, v1, vcc_lo
	ds_load_b128 v[0:3], v28 offset:6528
	ds_load_b128 v[4:7], v28 offset:8160
	v_lshlrev_b64_e32 v[18:19], 4, v[8:9]
	v_lshlrev_b64_e32 v[20:21], 4, v[10:11]
	ds_load_b128 v[8:11], v28 offset:9792
	ds_load_b128 v[12:15], v28 offset:11424
	v_lshlrev_b64_e32 v[22:23], 4, v[22:23]
	v_add_co_u32 v18, vcc_lo, v30, v18
	s_wait_alu 0xfffd
	v_add_co_ci_u32_e32 v19, vcc_lo, v31, v19, vcc_lo
	v_add_co_u32 v20, vcc_lo, v30, v20
	s_wait_alu 0xfffd
	v_add_co_ci_u32_e32 v21, vcc_lo, v31, v21, vcc_lo
	;; [unrolled: 3-line block ×3, first 2 shown]
	s_wait_dscnt 0x3
	global_store_b128 v[16:17], v[0:3], off
	s_wait_dscnt 0x2
	global_store_b128 v[18:19], v[4:7], off
	;; [unrolled: 2-line block ×4, first 2 shown]
	v_lshlrev_b64_e32 v[0:1], 4, v[24:25]
	v_dual_mov_b32 v9, v231 :: v_dual_add_nc_u32 v8, 0x396, v230
	v_dual_mov_b32 v11, v231 :: v_dual_add_nc_u32 v10, 0x3fc, v230
	;; [unrolled: 1-line block ×3, first 2 shown]
	s_delay_alu instid0(VALU_DEP_4)
	v_add_co_u32 v16, vcc_lo, v30, v0
	s_wait_alu 0xfffd
	v_add_co_ci_u32_e32 v17, vcc_lo, v31, v1, vcc_lo
	ds_load_b128 v[0:3], v28 offset:13056
	ds_load_b128 v[4:7], v28 offset:14688
	v_lshlrev_b64_e32 v[18:19], 4, v[8:9]
	v_lshlrev_b64_e32 v[20:21], 4, v[10:11]
	ds_load_b128 v[8:11], v28 offset:16320
	ds_load_b128 v[12:15], v28 offset:17952
	v_lshlrev_b64_e32 v[22:23], 4, v[22:23]
	v_add_nc_u32_e32 v24, 0x4c8, v230
	v_add_co_u32 v18, vcc_lo, v30, v18
	s_wait_alu 0xfffd
	v_add_co_ci_u32_e32 v19, vcc_lo, v31, v19, vcc_lo
	v_add_co_u32 v20, vcc_lo, v30, v20
	s_wait_alu 0xfffd
	v_add_co_ci_u32_e32 v21, vcc_lo, v31, v21, vcc_lo
	v_add_co_u32 v22, vcc_lo, v30, v22
	s_wait_dscnt 0x3
	global_store_b128 v[16:17], v[0:3], off
	s_wait_dscnt 0x2
	global_store_b128 v[18:19], v[4:7], off
	v_dual_mov_b32 v3, v231 :: v_dual_add_nc_u32 v2, 0x52e, v230
	s_wait_alu 0xfffd
	v_add_co_ci_u32_e32 v23, vcc_lo, v31, v23, vcc_lo
	v_lshlrev_b64_e32 v[0:1], 4, v[24:25]
	s_wait_dscnt 0x1
	global_store_b128 v[20:21], v[8:11], off
	s_wait_dscnt 0x0
	global_store_b128 v[22:23], v[12:15], off
	v_mov_b32_e32 v11, v231
	v_lshlrev_b64_e32 v[8:9], 4, v[2:3]
	v_add_nc_u32_e32 v10, 0x594, v230
	v_add_co_u32 v20, vcc_lo, v30, v0
	s_wait_alu 0xfffd
	v_add_co_ci_u32_e32 v21, vcc_lo, v31, v1, vcc_lo
	s_delay_alu instid0(VALU_DEP_4)
	v_add_co_u32 v22, vcc_lo, v30, v8
	ds_load_b128 v[0:3], v28 offset:19584
	ds_load_b128 v[4:7], v28 offset:21216
	s_wait_alu 0xfffd
	v_add_co_ci_u32_e32 v23, vcc_lo, v31, v9, vcc_lo
	v_lshlrev_b64_e32 v[26:27], 4, v[10:11]
	ds_load_b128 v[8:11], v28 offset:22848
	ds_load_b128 v[12:15], v28 offset:24480
	;; [unrolled: 1-line block ×3, first 2 shown]
	v_add_nc_u32_e32 v24, 0x5fa, v230
	v_add_nc_u32_e32 v230, 0x660, v230
	v_add_co_u32 v26, vcc_lo, v30, v26
	s_delay_alu instid0(VALU_DEP_3) | instskip(NEXT) | instid1(VALU_DEP_3)
	v_lshlrev_b64_e32 v[24:25], 4, v[24:25]
	v_lshlrev_b64_e32 v[28:29], 4, v[230:231]
	s_wait_alu 0xfffd
	v_add_co_ci_u32_e32 v27, vcc_lo, v31, v27, vcc_lo
	s_delay_alu instid0(VALU_DEP_3)
	v_add_co_u32 v24, vcc_lo, v30, v24
	s_wait_alu 0xfffd
	v_add_co_ci_u32_e32 v25, vcc_lo, v31, v25, vcc_lo
	v_add_co_u32 v28, vcc_lo, v30, v28
	s_wait_alu 0xfffd
	v_add_co_ci_u32_e32 v29, vcc_lo, v31, v29, vcc_lo
	s_wait_dscnt 0x4
	global_store_b128 v[20:21], v[0:3], off
	s_wait_dscnt 0x3
	global_store_b128 v[22:23], v[4:7], off
	;; [unrolled: 2-line block ×5, first 2 shown]
.LBB0_27:
	s_nop 0
	s_sendmsg sendmsg(MSG_DEALLOC_VGPRS)
	s_endpgm
	.section	.rodata,"a",@progbits
	.p2align	6, 0x0
	.amdhsa_kernel fft_rtc_back_len1734_factors_17_17_6_wgs_102_tpt_102_halfLds_dp_op_CI_CI_unitstride_sbrr_C2R_dirReg
		.amdhsa_group_segment_fixed_size 0
		.amdhsa_private_segment_fixed_size 340
		.amdhsa_kernarg_size 104
		.amdhsa_user_sgpr_count 2
		.amdhsa_user_sgpr_dispatch_ptr 0
		.amdhsa_user_sgpr_queue_ptr 0
		.amdhsa_user_sgpr_kernarg_segment_ptr 1
		.amdhsa_user_sgpr_dispatch_id 0
		.amdhsa_user_sgpr_private_segment_size 0
		.amdhsa_wavefront_size32 1
		.amdhsa_uses_dynamic_stack 0
		.amdhsa_enable_private_segment 1
		.amdhsa_system_sgpr_workgroup_id_x 1
		.amdhsa_system_sgpr_workgroup_id_y 0
		.amdhsa_system_sgpr_workgroup_id_z 0
		.amdhsa_system_sgpr_workgroup_info 0
		.amdhsa_system_vgpr_workitem_id 0
		.amdhsa_next_free_vgpr 256
		.amdhsa_next_free_sgpr 56
		.amdhsa_reserve_vcc 1
		.amdhsa_float_round_mode_32 0
		.amdhsa_float_round_mode_16_64 0
		.amdhsa_float_denorm_mode_32 3
		.amdhsa_float_denorm_mode_16_64 3
		.amdhsa_fp16_overflow 0
		.amdhsa_workgroup_processor_mode 1
		.amdhsa_memory_ordered 1
		.amdhsa_forward_progress 0
		.amdhsa_round_robin_scheduling 0
		.amdhsa_exception_fp_ieee_invalid_op 0
		.amdhsa_exception_fp_denorm_src 0
		.amdhsa_exception_fp_ieee_div_zero 0
		.amdhsa_exception_fp_ieee_overflow 0
		.amdhsa_exception_fp_ieee_underflow 0
		.amdhsa_exception_fp_ieee_inexact 0
		.amdhsa_exception_int_div_zero 0
	.end_amdhsa_kernel
	.text
.Lfunc_end0:
	.size	fft_rtc_back_len1734_factors_17_17_6_wgs_102_tpt_102_halfLds_dp_op_CI_CI_unitstride_sbrr_C2R_dirReg, .Lfunc_end0-fft_rtc_back_len1734_factors_17_17_6_wgs_102_tpt_102_halfLds_dp_op_CI_CI_unitstride_sbrr_C2R_dirReg
                                        ; -- End function
	.section	.AMDGPU.csdata,"",@progbits
; Kernel info:
; codeLenInByte = 19240
; NumSgprs: 58
; NumVgprs: 256
; ScratchSize: 340
; MemoryBound: 0
; FloatMode: 240
; IeeeMode: 1
; LDSByteSize: 0 bytes/workgroup (compile time only)
; SGPRBlocks: 7
; VGPRBlocks: 31
; NumSGPRsForWavesPerEU: 58
; NumVGPRsForWavesPerEU: 256
; Occupancy: 5
; WaveLimiterHint : 1
; COMPUTE_PGM_RSRC2:SCRATCH_EN: 1
; COMPUTE_PGM_RSRC2:USER_SGPR: 2
; COMPUTE_PGM_RSRC2:TRAP_HANDLER: 0
; COMPUTE_PGM_RSRC2:TGID_X_EN: 1
; COMPUTE_PGM_RSRC2:TGID_Y_EN: 0
; COMPUTE_PGM_RSRC2:TGID_Z_EN: 0
; COMPUTE_PGM_RSRC2:TIDIG_COMP_CNT: 0
	.text
	.p2alignl 7, 3214868480
	.fill 96, 4, 3214868480
	.type	__hip_cuid_2d0f05bd9f5bea13,@object ; @__hip_cuid_2d0f05bd9f5bea13
	.section	.bss,"aw",@nobits
	.globl	__hip_cuid_2d0f05bd9f5bea13
__hip_cuid_2d0f05bd9f5bea13:
	.byte	0                               ; 0x0
	.size	__hip_cuid_2d0f05bd9f5bea13, 1

	.ident	"AMD clang version 19.0.0git (https://github.com/RadeonOpenCompute/llvm-project roc-6.4.0 25133 c7fe45cf4b819c5991fe208aaa96edf142730f1d)"
	.section	".note.GNU-stack","",@progbits
	.addrsig
	.addrsig_sym __hip_cuid_2d0f05bd9f5bea13
	.amdgpu_metadata
---
amdhsa.kernels:
  - .args:
      - .actual_access:  read_only
        .address_space:  global
        .offset:         0
        .size:           8
        .value_kind:     global_buffer
      - .offset:         8
        .size:           8
        .value_kind:     by_value
      - .actual_access:  read_only
        .address_space:  global
        .offset:         16
        .size:           8
        .value_kind:     global_buffer
      - .actual_access:  read_only
        .address_space:  global
        .offset:         24
        .size:           8
        .value_kind:     global_buffer
      - .actual_access:  read_only
        .address_space:  global
        .offset:         32
        .size:           8
        .value_kind:     global_buffer
      - .offset:         40
        .size:           8
        .value_kind:     by_value
      - .actual_access:  read_only
        .address_space:  global
        .offset:         48
        .size:           8
        .value_kind:     global_buffer
      - .actual_access:  read_only
        .address_space:  global
        .offset:         56
        .size:           8
        .value_kind:     global_buffer
      - .offset:         64
        .size:           4
        .value_kind:     by_value
      - .actual_access:  read_only
        .address_space:  global
        .offset:         72
        .size:           8
        .value_kind:     global_buffer
      - .actual_access:  read_only
        .address_space:  global
        .offset:         80
        .size:           8
        .value_kind:     global_buffer
      - .actual_access:  read_only
        .address_space:  global
        .offset:         88
        .size:           8
        .value_kind:     global_buffer
      - .actual_access:  write_only
        .address_space:  global
        .offset:         96
        .size:           8
        .value_kind:     global_buffer
    .group_segment_fixed_size: 0
    .kernarg_segment_align: 8
    .kernarg_segment_size: 104
    .language:       OpenCL C
    .language_version:
      - 2
      - 0
    .max_flat_workgroup_size: 102
    .name:           fft_rtc_back_len1734_factors_17_17_6_wgs_102_tpt_102_halfLds_dp_op_CI_CI_unitstride_sbrr_C2R_dirReg
    .private_segment_fixed_size: 340
    .sgpr_count:     58
    .sgpr_spill_count: 0
    .symbol:         fft_rtc_back_len1734_factors_17_17_6_wgs_102_tpt_102_halfLds_dp_op_CI_CI_unitstride_sbrr_C2R_dirReg.kd
    .uniform_work_group_size: 1
    .uses_dynamic_stack: false
    .vgpr_count:     256
    .vgpr_spill_count: 126
    .wavefront_size: 32
    .workgroup_processor_mode: 1
amdhsa.target:   amdgcn-amd-amdhsa--gfx1201
amdhsa.version:
  - 1
  - 2
...

	.end_amdgpu_metadata
